;; amdgpu-corpus repo=ROCm/rocFFT kind=compiled arch=gfx906 opt=O3
	.text
	.amdgcn_target "amdgcn-amd-amdhsa--gfx906"
	.amdhsa_code_object_version 6
	.protected	fft_rtc_fwd_len3200_factors_10_10_4_4_2_wgs_160_tpt_160_halfLds_half_op_CI_CI_unitstride_sbrr_R2C_dirReg ; -- Begin function fft_rtc_fwd_len3200_factors_10_10_4_4_2_wgs_160_tpt_160_halfLds_half_op_CI_CI_unitstride_sbrr_R2C_dirReg
	.globl	fft_rtc_fwd_len3200_factors_10_10_4_4_2_wgs_160_tpt_160_halfLds_half_op_CI_CI_unitstride_sbrr_R2C_dirReg
	.p2align	8
	.type	fft_rtc_fwd_len3200_factors_10_10_4_4_2_wgs_160_tpt_160_halfLds_half_op_CI_CI_unitstride_sbrr_R2C_dirReg,@function
fft_rtc_fwd_len3200_factors_10_10_4_4_2_wgs_160_tpt_160_halfLds_half_op_CI_CI_unitstride_sbrr_R2C_dirReg: ; @fft_rtc_fwd_len3200_factors_10_10_4_4_2_wgs_160_tpt_160_halfLds_half_op_CI_CI_unitstride_sbrr_R2C_dirReg
; %bb.0:
	s_load_dwordx4 s[8:11], s[4:5], 0x58
	s_load_dwordx4 s[12:15], s[4:5], 0x0
	;; [unrolled: 1-line block ×3, first 2 shown]
	v_mul_u32_u24_e32 v1, 0x19a, v0
	v_add_u32_sdwa v5, s6, v1 dst_sel:DWORD dst_unused:UNUSED_PAD src0_sel:DWORD src1_sel:WORD_1
	v_mov_b32_e32 v3, 0
	s_waitcnt lgkmcnt(0)
	v_cmp_lt_u64_e64 s[0:1], s[14:15], 2
	v_mov_b32_e32 v1, 0
	v_mov_b32_e32 v6, v3
	s_and_b64 vcc, exec, s[0:1]
	v_mov_b32_e32 v2, 0
	s_cbranch_vccnz .LBB0_8
; %bb.1:
	s_load_dwordx2 s[0:1], s[4:5], 0x10
	s_add_u32 s2, s18, 8
	s_addc_u32 s3, s19, 0
	s_add_u32 s6, s16, 8
	v_mov_b32_e32 v1, 0
	s_addc_u32 s7, s17, 0
	v_mov_b32_e32 v2, 0
	s_waitcnt lgkmcnt(0)
	s_add_u32 s20, s0, 8
	v_mov_b32_e32 v13, v2
	s_addc_u32 s21, s1, 0
	s_mov_b64 s[22:23], 1
	v_mov_b32_e32 v12, v1
.LBB0_2:                                ; =>This Inner Loop Header: Depth=1
	s_load_dwordx2 s[24:25], s[20:21], 0x0
                                        ; implicit-def: $vgpr16_vgpr17
	s_waitcnt lgkmcnt(0)
	v_or_b32_e32 v4, s25, v6
	v_cmp_ne_u64_e32 vcc, 0, v[3:4]
	s_and_saveexec_b64 s[0:1], vcc
	s_xor_b64 s[26:27], exec, s[0:1]
	s_cbranch_execz .LBB0_4
; %bb.3:                                ;   in Loop: Header=BB0_2 Depth=1
	v_cvt_f32_u32_e32 v4, s24
	v_cvt_f32_u32_e32 v7, s25
	s_sub_u32 s0, 0, s24
	s_subb_u32 s1, 0, s25
	v_mac_f32_e32 v4, 0x4f800000, v7
	v_rcp_f32_e32 v4, v4
	v_mul_f32_e32 v4, 0x5f7ffffc, v4
	v_mul_f32_e32 v7, 0x2f800000, v4
	v_trunc_f32_e32 v7, v7
	v_mac_f32_e32 v4, 0xcf800000, v7
	v_cvt_u32_f32_e32 v7, v7
	v_cvt_u32_f32_e32 v4, v4
	v_mul_lo_u32 v8, s0, v7
	v_mul_hi_u32 v9, s0, v4
	v_mul_lo_u32 v11, s1, v4
	v_mul_lo_u32 v10, s0, v4
	v_add_u32_e32 v8, v9, v8
	v_add_u32_e32 v8, v8, v11
	v_mul_hi_u32 v9, v4, v10
	v_mul_lo_u32 v11, v4, v8
	v_mul_hi_u32 v15, v4, v8
	v_mul_hi_u32 v14, v7, v10
	v_mul_lo_u32 v10, v7, v10
	v_mul_hi_u32 v16, v7, v8
	v_add_co_u32_e32 v9, vcc, v9, v11
	v_addc_co_u32_e32 v11, vcc, 0, v15, vcc
	v_mul_lo_u32 v8, v7, v8
	v_add_co_u32_e32 v9, vcc, v9, v10
	v_addc_co_u32_e32 v9, vcc, v11, v14, vcc
	v_addc_co_u32_e32 v10, vcc, 0, v16, vcc
	v_add_co_u32_e32 v8, vcc, v9, v8
	v_addc_co_u32_e32 v9, vcc, 0, v10, vcc
	v_add_co_u32_e32 v4, vcc, v4, v8
	v_addc_co_u32_e32 v7, vcc, v7, v9, vcc
	v_mul_lo_u32 v8, s0, v7
	v_mul_hi_u32 v9, s0, v4
	v_mul_lo_u32 v10, s1, v4
	v_mul_lo_u32 v11, s0, v4
	v_add_u32_e32 v8, v9, v8
	v_add_u32_e32 v8, v8, v10
	v_mul_lo_u32 v14, v4, v8
	v_mul_hi_u32 v15, v4, v11
	v_mul_hi_u32 v16, v4, v8
	v_mul_hi_u32 v10, v7, v11
	v_mul_lo_u32 v11, v7, v11
	v_mul_hi_u32 v9, v7, v8
	v_add_co_u32_e32 v14, vcc, v15, v14
	v_addc_co_u32_e32 v15, vcc, 0, v16, vcc
	v_mul_lo_u32 v8, v7, v8
	v_add_co_u32_e32 v11, vcc, v14, v11
	v_addc_co_u32_e32 v10, vcc, v15, v10, vcc
	v_addc_co_u32_e32 v9, vcc, 0, v9, vcc
	v_add_co_u32_e32 v8, vcc, v10, v8
	v_addc_co_u32_e32 v9, vcc, 0, v9, vcc
	v_add_co_u32_e32 v4, vcc, v4, v8
	v_addc_co_u32_e32 v9, vcc, v7, v9, vcc
	v_mad_u64_u32 v[7:8], s[0:1], v5, v9, 0
	v_mul_hi_u32 v10, v5, v4
	v_add_co_u32_e32 v11, vcc, v10, v7
	v_addc_co_u32_e32 v14, vcc, 0, v8, vcc
	v_mad_u64_u32 v[7:8], s[0:1], v6, v4, 0
	v_mad_u64_u32 v[9:10], s[0:1], v6, v9, 0
	v_add_co_u32_e32 v4, vcc, v11, v7
	v_addc_co_u32_e32 v4, vcc, v14, v8, vcc
	v_addc_co_u32_e32 v7, vcc, 0, v10, vcc
	v_add_co_u32_e32 v4, vcc, v4, v9
	v_addc_co_u32_e32 v9, vcc, 0, v7, vcc
	v_mul_lo_u32 v10, s25, v4
	v_mul_lo_u32 v11, s24, v9
	v_mad_u64_u32 v[7:8], s[0:1], s24, v4, 0
	v_add3_u32 v8, v8, v11, v10
	v_sub_u32_e32 v10, v6, v8
	v_mov_b32_e32 v11, s25
	v_sub_co_u32_e32 v7, vcc, v5, v7
	v_subb_co_u32_e64 v10, s[0:1], v10, v11, vcc
	v_subrev_co_u32_e64 v11, s[0:1], s24, v7
	v_subbrev_co_u32_e64 v10, s[0:1], 0, v10, s[0:1]
	v_cmp_le_u32_e64 s[0:1], s25, v10
	v_cndmask_b32_e64 v14, 0, -1, s[0:1]
	v_cmp_le_u32_e64 s[0:1], s24, v11
	v_cndmask_b32_e64 v11, 0, -1, s[0:1]
	v_cmp_eq_u32_e64 s[0:1], s25, v10
	v_cndmask_b32_e64 v10, v14, v11, s[0:1]
	v_add_co_u32_e64 v11, s[0:1], 2, v4
	v_addc_co_u32_e64 v14, s[0:1], 0, v9, s[0:1]
	v_add_co_u32_e64 v15, s[0:1], 1, v4
	v_addc_co_u32_e64 v16, s[0:1], 0, v9, s[0:1]
	v_subb_co_u32_e32 v8, vcc, v6, v8, vcc
	v_cmp_ne_u32_e64 s[0:1], 0, v10
	v_cmp_le_u32_e32 vcc, s25, v8
	v_cndmask_b32_e64 v10, v16, v14, s[0:1]
	v_cndmask_b32_e64 v14, 0, -1, vcc
	v_cmp_le_u32_e32 vcc, s24, v7
	v_cndmask_b32_e64 v7, 0, -1, vcc
	v_cmp_eq_u32_e32 vcc, s25, v8
	v_cndmask_b32_e32 v7, v14, v7, vcc
	v_cmp_ne_u32_e32 vcc, 0, v7
	v_cndmask_b32_e64 v7, v15, v11, s[0:1]
	v_cndmask_b32_e32 v17, v9, v10, vcc
	v_cndmask_b32_e32 v16, v4, v7, vcc
.LBB0_4:                                ;   in Loop: Header=BB0_2 Depth=1
	s_andn2_saveexec_b64 s[0:1], s[26:27]
	s_cbranch_execz .LBB0_6
; %bb.5:                                ;   in Loop: Header=BB0_2 Depth=1
	v_cvt_f32_u32_e32 v4, s24
	s_sub_i32 s26, 0, s24
	v_mov_b32_e32 v17, v3
	v_rcp_iflag_f32_e32 v4, v4
	v_mul_f32_e32 v4, 0x4f7ffffe, v4
	v_cvt_u32_f32_e32 v4, v4
	v_mul_lo_u32 v7, s26, v4
	v_mul_hi_u32 v7, v4, v7
	v_add_u32_e32 v4, v4, v7
	v_mul_hi_u32 v4, v5, v4
	v_mul_lo_u32 v7, v4, s24
	v_add_u32_e32 v8, 1, v4
	v_sub_u32_e32 v7, v5, v7
	v_subrev_u32_e32 v9, s24, v7
	v_cmp_le_u32_e32 vcc, s24, v7
	v_cndmask_b32_e32 v7, v7, v9, vcc
	v_cndmask_b32_e32 v4, v4, v8, vcc
	v_add_u32_e32 v8, 1, v4
	v_cmp_le_u32_e32 vcc, s24, v7
	v_cndmask_b32_e32 v16, v4, v8, vcc
.LBB0_6:                                ;   in Loop: Header=BB0_2 Depth=1
	s_or_b64 exec, exec, s[0:1]
	v_mul_lo_u32 v4, v17, s24
	v_mul_lo_u32 v9, v16, s25
	v_mad_u64_u32 v[7:8], s[0:1], v16, s24, 0
	s_load_dwordx2 s[0:1], s[6:7], 0x0
	s_load_dwordx2 s[24:25], s[2:3], 0x0
	v_add3_u32 v4, v8, v9, v4
	v_sub_co_u32_e32 v5, vcc, v5, v7
	v_subb_co_u32_e32 v4, vcc, v6, v4, vcc
	s_waitcnt lgkmcnt(0)
	v_mul_lo_u32 v6, s0, v4
	v_mul_lo_u32 v7, s1, v5
	v_mad_u64_u32 v[1:2], s[0:1], s0, v5, v[1:2]
	v_mul_lo_u32 v4, s24, v4
	v_mul_lo_u32 v8, s25, v5
	v_mad_u64_u32 v[12:13], s[0:1], s24, v5, v[12:13]
	s_add_u32 s22, s22, 1
	s_addc_u32 s23, s23, 0
	s_add_u32 s2, s2, 8
	v_add3_u32 v13, v8, v13, v4
	s_addc_u32 s3, s3, 0
	v_mov_b32_e32 v4, s14
	s_add_u32 s6, s6, 8
	v_mov_b32_e32 v5, s15
	s_addc_u32 s7, s7, 0
	v_cmp_ge_u64_e32 vcc, s[22:23], v[4:5]
	s_add_u32 s20, s20, 8
	v_add3_u32 v2, v7, v2, v6
	s_addc_u32 s21, s21, 0
	s_cbranch_vccnz .LBB0_9
; %bb.7:                                ;   in Loop: Header=BB0_2 Depth=1
	v_mov_b32_e32 v5, v16
	v_mov_b32_e32 v6, v17
	s_branch .LBB0_2
.LBB0_8:
	v_mov_b32_e32 v13, v2
	v_mov_b32_e32 v17, v6
	;; [unrolled: 1-line block ×4, first 2 shown]
.LBB0_9:
	s_load_dwordx2 s[0:1], s[4:5], 0x28
	s_lshl_b64 s[6:7], s[14:15], 3
	s_add_u32 s2, s18, s6
	s_addc_u32 s3, s19, s7
                                        ; implicit-def: $vgpr14
                                        ; implicit-def: $vgpr18
                                        ; implicit-def: $vgpr22
                                        ; implicit-def: $vgpr30
                                        ; implicit-def: $vgpr32
                                        ; implicit-def: $vgpr20
                                        ; implicit-def: $vgpr34
                                        ; implicit-def: $vgpr28
                                        ; implicit-def: $vgpr24
                                        ; implicit-def: $vgpr26
	s_waitcnt lgkmcnt(0)
	v_cmp_gt_u64_e32 vcc, s[0:1], v[16:17]
	v_cmp_le_u64_e64 s[0:1], s[0:1], v[16:17]
	s_and_saveexec_b64 s[4:5], s[0:1]
	s_xor_b64 s[0:1], exec, s[4:5]
	s_cbranch_execz .LBB0_11
; %bb.10:
	s_mov_b32 s4, 0x199999a
	v_mul_hi_u32 v1, v0, s4
	v_mov_b32_e32 v15, 0
	v_mov_b32_e32 v19, v15
	;; [unrolled: 1-line block ×3, first 2 shown]
	v_mul_u32_u24_e32 v1, 0xa0, v1
	v_sub_u32_e32 v14, v0, v1
	v_add_u32_e32 v18, 0xa0, v14
	v_add_u32_e32 v22, 0x140, v14
	;; [unrolled: 1-line block ×4, first 2 shown]
	v_or_b32_e32 v20, 0x500, v14
	v_add_u32_e32 v34, 0x320, v14
	v_add_u32_e32 v28, 0x1e0, v14
	;; [unrolled: 1-line block ×4, first 2 shown]
	v_mov_b32_e32 v29, v15
	v_mov_b32_e32 v31, v15
	;; [unrolled: 1-line block ×7, first 2 shown]
                                        ; implicit-def: $vgpr0
                                        ; implicit-def: $vgpr1_vgpr2
.LBB0_11:
	s_andn2_saveexec_b64 s[4:5], s[0:1]
	s_cbranch_execz .LBB0_13
; %bb.12:
	s_add_u32 s0, s16, s6
	s_addc_u32 s1, s17, s7
	s_load_dwordx2 s[0:1], s[0:1], 0x0
	s_mov_b32 s6, 0x199999a
	v_mul_hi_u32 v5, v0, s6
	s_movk_i32 s6, 0x2000
	v_mov_b32_e32 v15, 0
	s_waitcnt lgkmcnt(0)
	v_mul_lo_u32 v6, s1, v16
	v_mul_lo_u32 v7, s0, v17
	v_mad_u64_u32 v[3:4], s[0:1], s0, v16, 0
	v_mul_u32_u24_e32 v5, 0xa0, v5
	v_sub_u32_e32 v14, v0, v5
	v_add3_u32 v4, v4, v7, v6
	v_lshlrev_b64 v[3:4], 2, v[3:4]
	v_mov_b32_e32 v0, s9
	v_add_co_u32_e64 v3, s[0:1], s8, v3
	v_addc_co_u32_e64 v4, s[0:1], v0, v4, s[0:1]
	v_lshlrev_b64 v[0:1], 2, v[1:2]
	v_lshlrev_b32_e32 v8, 2, v14
	v_add_co_u32_e64 v6, s[0:1], v3, v0
	v_addc_co_u32_e64 v7, s[0:1], v4, v1, s[0:1]
	v_add_co_u32_e64 v0, s[0:1], v6, v8
	v_addc_co_u32_e64 v1, s[0:1], 0, v7, s[0:1]
	s_movk_i32 s0, 0x1000
	v_add_co_u32_e64 v2, s[0:1], s0, v0
	v_or_b32_e32 v20, 0x500, v14
	v_addc_co_u32_e64 v3, s[0:1], 0, v1, s[0:1]
	v_lshlrev_b32_e32 v4, 2, v20
	v_add_co_u32_e64 v4, s[0:1], v6, v4
	v_addc_co_u32_e64 v5, s[0:1], 0, v7, s[0:1]
	global_load_dword v9, v[0:1], off
	global_load_dword v10, v[0:1], off offset:1920
	global_load_dword v11, v[0:1], off offset:2560
	global_load_dword v21, v[0:1], off offset:3200
	global_load_dword v24, v[0:1], off offset:3840
	global_load_dword v25, v[2:3], off offset:384
	global_load_dword v26, v[0:1], off offset:1280
	global_load_dword v27, v[0:1], off offset:640
	v_add_co_u32_e64 v0, s[0:1], s6, v0
	v_addc_co_u32_e64 v1, s[0:1], 0, v1, s[0:1]
	global_load_dword v36, v[2:3], off offset:1664
	global_load_dword v37, v[2:3], off offset:2304
	;; [unrolled: 1-line block ×6, first 2 shown]
	global_load_dword v42, v[4:5], off
	global_load_dword v43, v[2:3], off offset:3584
	v_or_b32_e32 v2, 0x2800, v8
	v_add_co_u32_e64 v2, s[0:1], v6, v2
	v_addc_co_u32_e64 v3, s[0:1], 0, v7, s[0:1]
	global_load_dword v4, v[2:3], off
	global_load_dword v5, v[0:1], off offset:2688
	global_load_dword v6, v[0:1], off offset:3328
	;; [unrolled: 1-line block ×3, first 2 shown]
	v_add_u32_e32 v0, 0, v8
	v_add_u32_e32 v1, 0x400, v0
	v_mov_b32_e32 v19, v15
	v_mov_b32_e32 v23, v15
	;; [unrolled: 1-line block ×6, first 2 shown]
	v_add_u32_e32 v18, 0xa0, v14
	v_add_u32_e32 v22, 0x140, v14
	;; [unrolled: 1-line block ×13, first 2 shown]
	s_waitcnt vmcnt(13)
	ds_write2_b32 v1, v26, v10 offset0:64 offset1:224
	ds_write2_b32 v2, v11, v21 offset1:160
	s_waitcnt vmcnt(12)
	ds_write2_b32 v0, v9, v27 offset1:160
	ds_write2_b32 v3, v24, v25 offset0:64 offset1:224
	s_waitcnt vmcnt(5)
	ds_write2_b32 v8, v42, v36 offset1:160
	ds_write2_b32 v44, v37, v38 offset0:64 offset1:224
	;; [unrolled: 3-line block ×3, first 2 shown]
	s_waitcnt vmcnt(2)
	ds_write2_b32 v47, v4, v5 offset1:160
	v_add_u32_e32 v24, 0x460, v14
	v_mov_b32_e32 v25, v15
	v_mov_b32_e32 v21, v15
	v_add_u32_e32 v0, 0x2c00, v0
	v_add_u32_e32 v26, 0x5a0, v14
	v_mov_b32_e32 v27, v15
	s_waitcnt vmcnt(0)
	ds_write2_b32 v0, v6, v7 offset0:64 offset1:224
.LBB0_13:
	s_or_b64 exec, exec, s[4:5]
	v_lshlrev_b32_e32 v37, 2, v14
	v_add_u32_e32 v36, 0, v37
	v_add_u32_e32 v0, 0xa00, v36
	;; [unrolled: 1-line block ×5, first 2 shown]
	s_load_dwordx2 s[2:3], s[2:3], 0x0
	s_waitcnt lgkmcnt(0)
	s_barrier
	ds_read2_b32 v[0:1], v0 offset1:160
	ds_read2_b32 v[4:5], v4 offset1:160
	;; [unrolled: 1-line block ×4, first 2 shown]
	v_add_u32_e32 v2, 0xe00, v36
	v_add_u32_e32 v47, 0x1800, v36
	;; [unrolled: 1-line block ×4, first 2 shown]
	s_waitcnt lgkmcnt(0)
	v_sub_f16_e32 v41, v8, v6
	v_sub_f16_e32 v42, v0, v4
	ds_read2_b32 v[2:3], v2 offset0:64 offset1:224
	ds_read2_b32 v[10:11], v48 offset0:64 offset1:224
	;; [unrolled: 1-line block ×3, first 2 shown]
	v_add_f16_e32 v51, v42, v41
	ds_read2_b32 v[41:42], v47 offset0:64 offset1:224
	v_sub_f16_sdwa v43, v0, v4 dst_sel:DWORD dst_unused:UNUSED_PAD src0_sel:WORD_1 src1_sel:WORD_1
	v_sub_f16_sdwa v44, v8, v6 dst_sel:DWORD dst_unused:UNUSED_PAD src0_sel:WORD_1 src1_sel:WORD_1
	v_add_f16_e32 v52, v43, v44
	s_waitcnt lgkmcnt(1)
	v_sub_f16_e32 v43, v38, v10
	s_waitcnt lgkmcnt(0)
	v_sub_f16_e32 v44, v2, v41
	v_add_f16_e32 v53, v44, v43
	v_sub_f16_sdwa v43, v2, v41 dst_sel:DWORD dst_unused:UNUSED_PAD src0_sel:WORD_1 src1_sel:WORD_1
	v_sub_f16_sdwa v44, v38, v10 dst_sel:DWORD dst_unused:UNUSED_PAD src0_sel:WORD_1 src1_sel:WORD_1
	v_add_f16_e32 v54, v43, v44
	v_add_u32_e32 v43, 0x400, v36
	ds_read2_b32 v[43:44], v43 offset0:64 offset1:224
	v_add_f16_e32 v49, v41, v10
	s_movk_i32 s1, 0x3b9c
	v_sub_f16_sdwa v56, v2, v38 dst_sel:DWORD dst_unused:UNUSED_PAD src0_sel:WORD_1 src1_sel:WORD_1
	s_movk_i32 s0, 0x38b4
	s_waitcnt lgkmcnt(0)
	v_fma_f16 v55, v49, -0.5, v43
	v_fma_f16 v49, v56, s1, v55
	v_sub_f16_sdwa v57, v41, v10 dst_sel:DWORD dst_unused:UNUSED_PAD src0_sel:WORD_1 src1_sel:WORD_1
	s_movk_i32 s5, 0x34f2
	v_fma_f16 v49, v57, s0, v49
	v_fma_f16 v58, v53, s5, v49
	v_add_f16_sdwa v49, v41, v10 dst_sel:DWORD dst_unused:UNUSED_PAD src0_sel:WORD_1 src1_sel:WORD_1
	v_lshrrev_b32_e32 v59, 16, v43
	s_mov_b32 s6, 0xbb9c
	v_fma_f16 v60, v49, -0.5, v59
	v_sub_f16_e32 v61, v2, v38
	s_mov_b32 s4, 0xb8b4
	v_fma_f16 v49, v61, s6, v60
	v_sub_f16_e32 v62, v41, v10
	v_fma_f16 v49, v62, s4, v49
	v_fma_f16 v63, v54, s5, v49
	ds_read2_b32 v[49:50], v36 offset1:160
	s_movk_i32 s7, 0x3a79
	v_mul_f16_e32 v64, 0x3a79, v58
	v_mul_f16_e32 v58, 0xb8b4, v58
	v_fma_f16 v64, v63, s0, v64
	v_fma_f16 v58, v63, s7, v58
	v_add_f16_e32 v63, v4, v6
	v_add_f16_sdwa v68, v4, v6 dst_sel:DWORD dst_unused:UNUSED_PAD src0_sel:WORD_1 src1_sel:WORD_1
	s_waitcnt lgkmcnt(0)
	v_lshrrev_b32_e32 v69, 16, v49
	v_fma_f16 v63, v63, -0.5, v49
	v_sub_f16_sdwa v65, v0, v8 dst_sel:DWORD dst_unused:UNUSED_PAD src0_sel:WORD_1 src1_sel:WORD_1
	v_fma_f16 v68, v68, -0.5, v69
	v_sub_f16_e32 v70, v0, v8
	v_fma_f16 v66, v65, s1, v63
	v_sub_f16_sdwa v67, v4, v6 dst_sel:DWORD dst_unused:UNUSED_PAD src0_sel:WORD_1 src1_sel:WORD_1
	v_fma_f16 v71, v70, s6, v68
	v_sub_f16_e32 v72, v4, v6
	v_fma_f16 v66, v67, s0, v66
	v_fma_f16 v71, v72, s4, v71
	;; [unrolled: 1-line block ×4, first 2 shown]
	v_add_f16_e32 v73, v66, v64
	v_add_f16_e32 v74, v71, v58
	v_pack_b32_f16 v73, v73, v74
	v_pk_add_f16 v74, v49, v0
	v_pk_add_f16 v75, v43, v2
	;; [unrolled: 1-line block ×8, first 2 shown]
	v_mad_u32_u24 v76, v14, 36, v36
	v_pk_add_f16 v77, v74, v75
	s_barrier
	ds_write2_b32 v76, v77, v73 offset1:1
	v_sub_f16_e32 v73, v6, v8
	v_sub_f16_e32 v77, v4, v0
	v_add_f16_e32 v73, v77, v73
	v_add_f16_e32 v77, v0, v8
	v_fma_f16 v49, v77, -0.5, v49
	v_fma_f16 v77, v67, s6, v49
	v_fma_f16 v49, v67, s1, v49
	;; [unrolled: 1-line block ×6, first 2 shown]
	v_add_f16_sdwa v73, v0, v8 dst_sel:DWORD dst_unused:UNUSED_PAD src0_sel:WORD_1 src1_sel:WORD_1
	v_fma_f16 v69, v73, -0.5, v69
	v_sub_f16_sdwa v0, v4, v0 dst_sel:DWORD dst_unused:UNUSED_PAD src0_sel:WORD_1 src1_sel:WORD_1
	v_sub_f16_sdwa v4, v6, v8 dst_sel:DWORD dst_unused:UNUSED_PAD src0_sel:WORD_1 src1_sel:WORD_1
	v_add_f16_e32 v0, v0, v4
	v_fma_f16 v4, v72, s1, v69
	v_fma_f16 v6, v72, s6, v69
	;; [unrolled: 1-line block ×6, first 2 shown]
	v_sub_f16_e32 v6, v10, v38
	v_sub_f16_e32 v8, v41, v2
	v_add_f16_e32 v6, v8, v6
	v_add_f16_e32 v8, v2, v38
	v_fma_f16 v8, v8, -0.5, v43
	v_fma_f16 v43, v57, s6, v8
	v_fma_f16 v8, v57, s1, v8
	;; [unrolled: 1-line block ×6, first 2 shown]
	v_add_f16_sdwa v8, v2, v38 dst_sel:DWORD dst_unused:UNUSED_PAD src0_sel:WORD_1 src1_sel:WORD_1
	v_fma_f16 v8, v8, -0.5, v59
	v_sub_f16_sdwa v2, v41, v2 dst_sel:DWORD dst_unused:UNUSED_PAD src0_sel:WORD_1 src1_sel:WORD_1
	v_sub_f16_sdwa v10, v10, v38 dst_sel:DWORD dst_unused:UNUSED_PAD src0_sel:WORD_1 src1_sel:WORD_1
	v_add_f16_e32 v2, v2, v10
	v_fma_f16 v10, v62, s1, v8
	v_fma_f16 v10, v61, s4, v10
	;; [unrolled: 1-line block ×5, first 2 shown]
	v_mul_f16_e32 v38, 0xbb9c, v43
	v_fma_f16 v2, v2, s5, v8
	v_mul_f16_e32 v8, 0x3b9c, v10
	v_fma_f16 v10, v10, s5, v38
	v_mul_f16_e32 v38, 0x34f2, v6
	v_fma_f16 v38, v2, s1, -v38
	v_mul_f16_e32 v2, 0x34f2, v2
	v_fma_f16 v2, v6, s6, -v2
	v_fma_f16 v8, v43, s5, v8
	v_add_f16_e32 v6, v49, v38
	v_add_f16_e32 v41, v0, v2
	v_pack_b32_f16 v6, v6, v41
	v_add_f16_e32 v41, v77, v8
	v_add_f16_e32 v43, v4, v10
	v_pack_b32_f16 v41, v41, v43
	ds_write2_b32 v76, v41, v6 offset0:2 offset1:3
	v_fma_f16 v6, v65, s6, v63
	v_fma_f16 v6, v67, s4, v6
	;; [unrolled: 1-line block ×12, first 2 shown]
	v_mul_f16_e32 v52, 0x3a79, v43
	v_fma_f16 v52, v51, s0, -v52
	v_mul_f16_e32 v51, 0x3a79, v51
	v_fma_f16 v43, v43, s4, -v51
	v_add_f16_e32 v53, v6, v52
	v_add_f16_e32 v54, v41, v43
	v_pk_add_f16 v51, v74, v75 neg_lo:[0,1] neg_hi:[0,1]
	v_pack_b32_f16 v53, v53, v54
	ds_write2_b32 v76, v53, v51 offset0:4 offset1:5
	v_sub_f16_e32 v51, v66, v64
	v_sub_f16_e32 v8, v77, v8
	;; [unrolled: 1-line block ×4, first 2 shown]
	v_pack_b32_f16 v10, v51, v53
	v_pack_b32_f16 v4, v8, v4
	ds_write2_b32 v76, v10, v4 offset0:6 offset1:7
	v_sub_f16_e32 v4, v49, v38
	v_sub_f16_e32 v6, v6, v52
	;; [unrolled: 1-line block ×4, first 2 shown]
	v_pack_b32_f16 v2, v6, v2
	v_pack_b32_f16 v0, v4, v0
	ds_write2_b32 v76, v0, v2 offset0:8 offset1:9
	v_pk_add_f16 v0, v50, v1
	v_pk_add_f16 v0, v0, v5
	;; [unrolled: 1-line block ×3, first 2 shown]
	v_add_f16_e32 v2, v5, v7
	v_sub_f16_sdwa v4, v5, v7 dst_sel:DWORD dst_unused:UNUSED_PAD src0_sel:WORD_1 src1_sel:WORD_1
	v_sub_f16_e32 v6, v1, v5
	v_sub_f16_e32 v8, v5, v1
	v_add_f16_sdwa v10, v5, v7 dst_sel:DWORD dst_unused:UNUSED_PAD src0_sel:WORD_1 src1_sel:WORD_1
	v_sub_f16_e32 v38, v5, v7
	v_sub_f16_sdwa v41, v1, v5 dst_sel:DWORD dst_unused:UNUSED_PAD src0_sel:WORD_1 src1_sel:WORD_1
	v_sub_f16_sdwa v5, v5, v1 dst_sel:DWORD dst_unused:UNUSED_PAD src0_sel:WORD_1 src1_sel:WORD_1
	;; [unrolled: 1-line block ×3, first 2 shown]
	v_add_f16_e32 v43, v1, v9
	v_sub_f16_e32 v51, v1, v9
	v_add_f16_sdwa v1, v1, v9 dst_sel:DWORD dst_unused:UNUSED_PAD src0_sel:WORD_1 src1_sel:WORD_1
	v_sub_f16_e32 v52, v9, v7
	v_sub_f16_e32 v53, v7, v9
	v_sub_f16_sdwa v54, v9, v7 dst_sel:DWORD dst_unused:UNUSED_PAD src0_sel:WORD_1 src1_sel:WORD_1
	v_sub_f16_sdwa v7, v7, v9 dst_sel:DWORD dst_unused:UNUSED_PAD src0_sel:WORD_1 src1_sel:WORD_1
	v_pk_add_f16 v0, v0, v9
	v_pk_add_f16 v9, v44, v3
	;; [unrolled: 1-line block ×3, first 2 shown]
	v_add_f16_e32 v55, v42, v11
	v_add_f16_e32 v63, v3, v39
	v_add_f16_sdwa v59, v42, v11 dst_sel:DWORD dst_unused:UNUSED_PAD src0_sel:WORD_1 src1_sel:WORD_1
	v_sub_f16_sdwa v62, v3, v39 dst_sel:DWORD dst_unused:UNUSED_PAD src0_sel:WORD_1 src1_sel:WORD_1
	v_pk_add_f16 v9, v9, v11
	v_add_f16_e32 v41, v41, v54
	v_fma_f16 v54, v55, -0.5, v44
	v_fma_f16 v55, v63, -0.5, v44
	v_lshrrev_b32_e32 v44, 16, v44
	v_sub_f16_sdwa v56, v42, v11 dst_sel:DWORD dst_unused:UNUSED_PAD src0_sel:WORD_1 src1_sel:WORD_1
	v_sub_f16_e32 v57, v3, v42
	v_sub_f16_e32 v58, v42, v3
	;; [unrolled: 1-line block ×3, first 2 shown]
	v_sub_f16_sdwa v61, v3, v42 dst_sel:DWORD dst_unused:UNUSED_PAD src0_sel:WORD_1 src1_sel:WORD_1
	v_sub_f16_sdwa v42, v42, v3 dst_sel:DWORD dst_unused:UNUSED_PAD src0_sel:WORD_1 src1_sel:WORD_1
	v_sub_f16_e32 v64, v3, v39
	v_add_f16_sdwa v3, v3, v39 dst_sel:DWORD dst_unused:UNUSED_PAD src0_sel:WORD_1 src1_sel:WORD_1
	v_sub_f16_e32 v65, v39, v11
	v_sub_f16_e32 v66, v11, v39
	v_sub_f16_sdwa v67, v39, v11 dst_sel:DWORD dst_unused:UNUSED_PAD src0_sel:WORD_1 src1_sel:WORD_1
	v_sub_f16_sdwa v11, v11, v39 dst_sel:DWORD dst_unused:UNUSED_PAD src0_sel:WORD_1 src1_sel:WORD_1
	v_pk_add_f16 v9, v9, v39
	v_fma_f16 v39, v43, -0.5, v50
	v_fma_f16 v43, v62, s1, v54
	v_fma_f16 v59, v59, -0.5, v44
	v_add_f16_e32 v6, v6, v52
	v_add_f16_e32 v52, v57, v65
	;; [unrolled: 1-line block ×3, first 2 shown]
	v_fma_f16 v43, v56, s0, v43
	v_fma_f16 v61, v64, s6, v59
	v_fma_f16 v43, v52, s5, v43
	v_fma_f16 v61, v60, s4, v61
	v_fma_f16 v2, v2, -0.5, v50
	v_fma_f16 v61, v57, s5, v61
	v_mul_f16_e32 v63, 0x3a79, v43
	v_mul_f16_e32 v43, 0xb8b4, v43
	v_fma_f16 v63, v61, s0, v63
	v_fma_f16 v61, v61, s7, v43
	;; [unrolled: 1-line block ×6, first 2 shown]
	v_lshrrev_b32_e32 v50, 16, v50
	v_fma_f16 v65, v6, s5, v43
	v_fma_f16 v2, v6, s5, v2
	v_add_f16_e32 v6, v8, v53
	v_fma_f16 v8, v4, s6, v39
	v_fma_f16 v4, v4, s1, v39
	v_fma_f16 v10, v10, -0.5, v50
	v_fma_f16 v8, v49, s0, v8
	v_fma_f16 v4, v49, s4, v4
	;; [unrolled: 1-line block ×8, first 2 shown]
	v_fma_f16 v3, v3, -0.5, v44
	v_fma_f16 v67, v41, s5, v43
	v_fma_f16 v6, v41, s5, v6
	v_fma_f16 v1, v1, -0.5, v50
	v_fma_f16 v41, v60, s1, v3
	v_add_f16_e32 v5, v5, v7
	v_fma_f16 v7, v38, s1, v1
	v_fma_f16 v1, v38, s6, v1
	;; [unrolled: 1-line block ×3, first 2 shown]
	v_add_f16_e32 v11, v42, v11
	v_fma_f16 v3, v60, s6, v3
	v_fma_f16 v41, v64, s4, v41
	v_add_f16_e32 v10, v58, v66
	v_fma_f16 v39, v56, s1, v55
	v_fma_f16 v38, v62, s0, v38
	;; [unrolled: 1-line block ×9, first 2 shown]
	v_mul_f16_e32 v11, 0x3b9c, v41
	v_fma_f16 v7, v5, s5, v7
	v_fma_f16 v1, v5, s5, v1
	;; [unrolled: 1-line block ×5, first 2 shown]
	v_mul_f16_e32 v38, 0xbb9c, v38
	v_fma_f16 v5, v56, s4, v5
	v_fma_f16 v39, v64, s1, v59
	;; [unrolled: 1-line block ×3, first 2 shown]
	v_mul_f16_e32 v41, 0x34f2, v10
	v_fma_f16 v5, v52, s5, v5
	v_fma_f16 v39, v60, s0, v39
	v_fma_f16 v41, v3, s1, -v41
	v_mul_f16_e32 v3, 0x34f2, v3
	v_fma_f16 v39, v57, s5, v39
	v_fma_f16 v3, v10, s6, -v3
	v_mul_f16_e32 v10, 0x3a79, v5
	v_fma_f16 v10, v39, s0, -v10
	v_mul_f16_e32 v39, 0x3a79, v39
	v_add_f16_e32 v43, v65, v63
	v_add_f16_e32 v68, v67, v61
	v_fma_f16 v5, v5, s4, -v39
	v_pack_b32_f16 v68, v43, v68
	v_mul_i32_i24_e32 v43, 10, v18
	v_add_f16_e32 v42, v8, v11
	v_sub_f16_e32 v8, v8, v11
	v_add_f16_e32 v11, v4, v41
	v_sub_f16_e32 v4, v4, v41
	v_add_f16_e32 v41, v2, v10
	v_add_f16_e32 v44, v7, v38
	v_sub_f16_e32 v7, v7, v38
	v_add_f16_e32 v38, v1, v3
	v_sub_f16_e32 v1, v1, v3
	v_add_f16_e32 v3, v6, v5
	v_lshl_add_u32 v43, v43, 2, 0
	v_pk_add_f16 v69, v0, v9
	v_sub_f16_e32 v39, v65, v63
	v_sub_f16_e32 v2, v2, v10
	;; [unrolled: 1-line block ×3, first 2 shown]
	v_pk_add_f16 v0, v0, v9 neg_lo:[0,1] neg_hi:[0,1]
	v_pack_b32_f16 v3, v41, v3
	v_sub_f16_e32 v5, v6, v5
	ds_write2_b32 v43, v3, v0 offset0:4 offset1:5
	v_pack_b32_f16 v0, v39, v10
	v_pack_b32_f16 v3, v8, v7
	ds_write2_b32 v43, v0, v3 offset0:6 offset1:7
	v_pack_b32_f16 v0, v2, v5
	v_pack_b32_f16 v1, v4, v1
	s_movk_i32 s8, 0xcd
	ds_write2_b32 v43, v1, v0 offset0:8 offset1:9
	v_mul_lo_u16_sdwa v0, v14, s8 dst_sel:DWORD dst_unused:UNUSED_PAD src0_sel:BYTE_0 src1_sel:DWORD
	v_lshrrev_b16_e32 v51, 11, v0
	v_mul_lo_u16_e32 v0, 10, v51
	v_sub_u16_e32 v52, v14, v0
	v_mov_b32_e32 v0, 9
	v_mul_u32_u24_sdwa v0, v52, v0 dst_sel:DWORD dst_unused:UNUSED_PAD src0_sel:BYTE_0 src1_sel:DWORD
	v_pack_b32_f16 v6, v11, v38
	v_pack_b32_f16 v11, v42, v44
	v_lshlrev_b32_e32 v53, 2, v0
	ds_write2_b32 v43, v69, v68 offset1:1
	ds_write2_b32 v43, v11, v6 offset0:2 offset1:3
	s_waitcnt lgkmcnt(0)
	s_barrier
	global_load_dwordx4 v[0:3], v53, s[12:13]
	s_mov_b32 s8, 0xcccd
	v_mul_u32_u24_sdwa v4, v18, s8 dst_sel:DWORD dst_unused:UNUSED_PAD src0_sel:WORD_0 src1_sel:DWORD
	v_lshrrev_b32_e32 v49, 19, v4
	v_mul_lo_u16_e32 v4, 10, v49
	v_sub_u16_e32 v50, v18, v4
	v_mul_u32_u24_e32 v4, 9, v50
	v_lshlrev_b32_e32 v54, 2, v4
	global_load_dwordx4 v[8:11], v54, s[12:13]
	global_load_dwordx4 v[4:7], v53, s[12:13] offset:16
	global_load_dwordx4 v[55:58], v54, s[12:13] offset:16
	v_lshl_add_u32 v41, v22, 2, 0
	s_movk_i32 s8, 0xffdc
	v_lshl_add_u32 v39, v30, 2, 0
	v_lshl_add_u32 v38, v32, 2, 0
	;; [unrolled: 1-line block ×3, first 2 shown]
	v_mad_i32_i24 v44, v18, s8, v43
	ds_read_b32 v59, v41
	ds_read_b32 v60, v39
	;; [unrolled: 1-line block ×6, first 2 shown]
	global_load_dword v53, v53, s[12:13] offset:32
	s_waitcnt lgkmcnt(5)
	v_lshrrev_b32_e32 v65, 16, v59
	v_add_u32_e32 v68, 0x80, v36
	v_mul_u32_u24_e32 v51, 0x190, v51
	v_mul_u32_u24_e32 v49, 0x190, v49
	v_lshlrev_b32_e32 v50, 2, v50
	v_add3_u32 v49, 0, v49, v50
	s_mov_b32 s8, 0xffff
	s_waitcnt vmcnt(4)
	v_mul_f16_sdwa v66, v0, v65 dst_sel:DWORD dst_unused:UNUSED_PAD src0_sel:WORD_1 src1_sel:DWORD
	v_fma_f16 v66, v0, v59, -v66
	v_mul_f16_sdwa v59, v0, v59 dst_sel:DWORD dst_unused:UNUSED_PAD src0_sel:WORD_1 src1_sel:DWORD
	v_fma_f16 v59, v0, v65, v59
	s_waitcnt lgkmcnt(4)
	v_lshrrev_b32_e32 v0, 16, v60
	v_mul_f16_sdwa v65, v1, v0 dst_sel:DWORD dst_unused:UNUSED_PAD src0_sel:WORD_1 src1_sel:DWORD
	v_fma_f16 v65, v1, v60, -v65
	v_mul_f16_sdwa v60, v1, v60 dst_sel:DWORD dst_unused:UNUSED_PAD src0_sel:WORD_1 src1_sel:DWORD
	v_fma_f16 v60, v1, v0, v60
	s_waitcnt lgkmcnt(3)
	v_lshrrev_b32_e32 v0, 16, v61
	v_mul_f16_sdwa v1, v2, v0 dst_sel:DWORD dst_unused:UNUSED_PAD src0_sel:WORD_1 src1_sel:DWORD
	v_fma_f16 v67, v2, v61, -v1
	v_mul_f16_sdwa v1, v2, v61 dst_sel:DWORD dst_unused:UNUSED_PAD src0_sel:WORD_1 src1_sel:DWORD
	v_fma_f16 v61, v2, v0, v1
	ds_read2st64_b32 v[0:1], v68 offset0:7 offset1:12
	s_waitcnt lgkmcnt(3)
	v_lshrrev_b32_e32 v2, 16, v62
	v_mul_f16_sdwa v69, v2, v3 dst_sel:DWORD dst_unused:UNUSED_PAD src0_sel:DWORD src1_sel:WORD_1
	v_fma_f16 v69, v62, v3, -v69
	v_mul_f16_sdwa v62, v62, v3 dst_sel:DWORD dst_unused:UNUSED_PAD src0_sel:DWORD src1_sel:WORD_1
	v_fma_f16 v62, v2, v3, v62
	s_waitcnt lgkmcnt(0)
	v_lshrrev_b32_e32 v2, 16, v0
	s_waitcnt vmcnt(3)
	v_mul_f16_sdwa v3, v0, v8 dst_sel:DWORD dst_unused:UNUSED_PAD src0_sel:DWORD src1_sel:WORD_1
	v_fma_f16 v70, v2, v8, v3
	v_mul_f16_sdwa v2, v2, v8 dst_sel:DWORD dst_unused:UNUSED_PAD src0_sel:DWORD src1_sel:WORD_1
	v_fma_f16 v71, v0, v8, -v2
	ds_read2st64_b32 v[2:3], v68 offset0:17 offset1:22
	v_lshrrev_b32_e32 v0, 16, v1
	v_mul_f16_sdwa v8, v0, v9 dst_sel:DWORD dst_unused:UNUSED_PAD src0_sel:DWORD src1_sel:WORD_1
	v_fma_f16 v68, v1, v9, -v8
	v_mul_f16_sdwa v1, v1, v9 dst_sel:DWORD dst_unused:UNUSED_PAD src0_sel:DWORD src1_sel:WORD_1
	v_fma_f16 v72, v0, v9, v1
	s_waitcnt lgkmcnt(0)
	v_lshrrev_b32_e32 v0, 16, v2
	v_mul_f16_sdwa v1, v2, v10 dst_sel:DWORD dst_unused:UNUSED_PAD src0_sel:DWORD src1_sel:WORD_1
	v_fma_f16 v73, v0, v10, v1
	v_mul_f16_sdwa v0, v0, v10 dst_sel:DWORD dst_unused:UNUSED_PAD src0_sel:DWORD src1_sel:WORD_1
	v_fma_f16 v10, v2, v10, -v0
	v_lshrrev_b32_e32 v2, 16, v3
	ds_read2_b32 v[0:1], v47 offset0:64 offset1:224
	v_mul_f16_sdwa v8, v2, v11 dst_sel:DWORD dst_unused:UNUSED_PAD src0_sel:DWORD src1_sel:WORD_1
	v_fma_f16 v47, v3, v11, -v8
	v_mul_f16_sdwa v3, v3, v11 dst_sel:DWORD dst_unused:UNUSED_PAD src0_sel:DWORD src1_sel:WORD_1
	v_fma_f16 v11, v2, v11, v3
	ds_read2_b32 v[2:3], v46 offset1:160
	s_waitcnt lgkmcnt(1)
	v_lshrrev_b32_e32 v8, 16, v0
	s_waitcnt vmcnt(2)
	v_mul_f16_sdwa v9, v0, v4 dst_sel:DWORD dst_unused:UNUSED_PAD src0_sel:DWORD src1_sel:WORD_1
	v_fma_f16 v46, v8, v4, v9
	v_mul_f16_sdwa v8, v8, v4 dst_sel:DWORD dst_unused:UNUSED_PAD src0_sel:DWORD src1_sel:WORD_1
	v_fma_f16 v74, v0, v4, -v8
	s_waitcnt lgkmcnt(0)
	v_lshrrev_b32_e32 v0, 16, v2
	ds_read2_b32 v[8:9], v48 offset0:64 offset1:224
	v_mul_f16_sdwa v4, v2, v5 dst_sel:DWORD dst_unused:UNUSED_PAD src0_sel:DWORD src1_sel:WORD_1
	v_fma_f16 v48, v0, v5, v4
	v_mul_f16_sdwa v0, v0, v5 dst_sel:DWORD dst_unused:UNUSED_PAD src0_sel:DWORD src1_sel:WORD_1
	v_fma_f16 v2, v2, v5, -v0
	ds_read2_b32 v[4:5], v45 offset1:160
	s_waitcnt lgkmcnt(1)
	v_lshrrev_b32_e32 v0, 16, v8
	v_mul_f16_sdwa v45, v8, v6 dst_sel:DWORD dst_unused:UNUSED_PAD src0_sel:DWORD src1_sel:WORD_1
	v_fma_f16 v45, v0, v6, v45
	v_mul_f16_sdwa v0, v0, v6 dst_sel:DWORD dst_unused:UNUSED_PAD src0_sel:DWORD src1_sel:WORD_1
	v_fma_f16 v6, v8, v6, -v0
	s_waitcnt lgkmcnt(0)
	v_lshrrev_b32_e32 v0, 16, v4
	v_mul_f16_sdwa v8, v4, v7 dst_sel:DWORD dst_unused:UNUSED_PAD src0_sel:DWORD src1_sel:WORD_1
	v_fma_f16 v8, v0, v7, v8
	v_mul_f16_sdwa v0, v0, v7 dst_sel:DWORD dst_unused:UNUSED_PAD src0_sel:DWORD src1_sel:WORD_1
	v_fma_f16 v4, v4, v7, -v0
	global_load_dword v7, v54, s[12:13] offset:32
	v_lshrrev_b32_e32 v0, 16, v1
	s_waitcnt vmcnt(2)
	v_mul_f16_sdwa v54, v0, v55 dst_sel:DWORD dst_unused:UNUSED_PAD src0_sel:DWORD src1_sel:WORD_1
	v_fma_f16 v54, v1, v55, -v54
	v_mul_f16_sdwa v1, v1, v55 dst_sel:DWORD dst_unused:UNUSED_PAD src0_sel:DWORD src1_sel:WORD_1
	v_fma_f16 v55, v0, v55, v1
	v_lshrrev_b32_e32 v0, 16, v3
	v_mul_f16_sdwa v1, v0, v56 dst_sel:DWORD dst_unused:UNUSED_PAD src0_sel:DWORD src1_sel:WORD_1
	v_fma_f16 v75, v3, v56, -v1
	v_mul_f16_sdwa v1, v3, v56 dst_sel:DWORD dst_unused:UNUSED_PAD src0_sel:DWORD src1_sel:WORD_1
	v_fma_f16 v3, v0, v56, v1
	v_lshrrev_b32_e32 v0, 16, v9
	v_mul_f16_sdwa v1, v0, v57 dst_sel:DWORD dst_unused:UNUSED_PAD src0_sel:DWORD src1_sel:WORD_1
	v_fma_f16 v56, v9, v57, -v1
	v_mul_f16_sdwa v1, v9, v57 dst_sel:DWORD dst_unused:UNUSED_PAD src0_sel:DWORD src1_sel:WORD_1
	v_fma_f16 v9, v0, v57, v1
	ds_read2_b32 v[0:1], v40 offset0:64 offset1:224
	v_lshrrev_b32_e32 v57, 16, v5
	v_mul_f16_sdwa v76, v57, v58 dst_sel:DWORD dst_unused:UNUSED_PAD src0_sel:DWORD src1_sel:WORD_1
	v_fma_f16 v76, v5, v58, -v76
	v_mul_f16_sdwa v5, v5, v58 dst_sel:DWORD dst_unused:UNUSED_PAD src0_sel:DWORD src1_sel:WORD_1
	v_fma_f16 v5, v57, v58, v5
	s_waitcnt lgkmcnt(0)
	v_lshrrev_b32_e32 v57, 16, v0
	s_waitcnt vmcnt(1)
	v_mul_f16_sdwa v58, v0, v53 dst_sel:DWORD dst_unused:UNUSED_PAD src0_sel:DWORD src1_sel:WORD_1
	v_fma_f16 v58, v57, v53, v58
	v_mul_f16_sdwa v57, v57, v53 dst_sel:DWORD dst_unused:UNUSED_PAD src0_sel:DWORD src1_sel:WORD_1
	v_fma_f16 v0, v0, v53, -v57
	v_sub_f16_e32 v53, v65, v69
	v_sub_f16_e32 v57, v4, v2
	v_add_f16_e32 v53, v53, v57
	v_sub_f16_e32 v57, v60, v62
	v_sub_f16_e32 v77, v8, v48
	v_add_f16_e32 v57, v57, v77
	;; [unrolled: 3-line block ×4, first 2 shown]
	v_add_f16_e32 v78, v78, v79
	v_add_f16_e32 v79, v74, v6
	v_fma_f16 v83, v83, -0.5, v59
	v_sub_f16_e32 v84, v67, v0
	v_fma_f16 v79, v79, -0.5, v66
	v_sub_f16_e32 v80, v61, v58
	v_fma_f16 v85, v84, s6, v83
	v_sub_f16_e32 v86, v74, v6
	v_fma_f16 v81, v80, s1, v79
	;; [unrolled: 2-line block ×3, first 2 shown]
	v_fma_f16 v81, v82, s0, v81
	v_fma_f16 v85, v78, s5, v85
	;; [unrolled: 1-line block ×3, first 2 shown]
	v_mul_f16_e32 v87, 0x38b4, v85
	v_fma_f16 v87, v81, s7, v87
	v_mul_f16_e32 v81, 0xb8b4, v81
	v_fma_f16 v81, v85, s7, v81
	v_mov_b32_e32 v85, 2
	v_lshlrev_b32_sdwa v52, v85, v52 dst_sel:DWORD dst_unused:UNUSED_PAD src0_sel:DWORD src1_sel:BYTE_0
	v_lshrrev_b32_e32 v85, 16, v64
	v_add3_u32 v51, 0, v51, v52
	v_add_f16_e32 v52, v64, v65
	v_add_f16_e32 v88, v85, v60
	;; [unrolled: 1-line block ×18, first 2 shown]
	v_pack_b32_f16 v91, v91, v92
	v_add_f16_e32 v92, v69, v2
	v_add_f16_e32 v96, v62, v48
	v_fma_f16 v92, v92, -0.5, v64
	v_sub_f16_e32 v93, v60, v8
	v_fma_f16 v96, v96, -0.5, v85
	v_sub_f16_e32 v97, v65, v4
	v_fma_f16 v94, v93, s1, v92
	v_sub_f16_e32 v95, v62, v48
	v_fma_f16 v98, v97, s6, v96
	;; [unrolled: 2-line block ×3, first 2 shown]
	v_fma_f16 v98, v99, s4, v98
	v_fma_f16 v94, v53, s5, v94
	;; [unrolled: 1-line block ×3, first 2 shown]
	v_add_f16_e32 v100, v94, v87
	v_add_f16_e32 v101, v98, v81
	v_pack_b32_f16 v100, v100, v101
	s_waitcnt vmcnt(0)
	s_barrier
	ds_write2_b32 v51, v91, v100 offset1:10
	v_add_f16_e32 v91, v65, v4
	v_fma_f16 v64, v91, -0.5, v64
	v_sub_f16_e32 v65, v69, v65
	v_sub_f16_e32 v2, v2, v4
	v_fma_f16 v4, v95, s6, v64
	v_fma_f16 v64, v95, s1, v64
	v_add_f16_e32 v2, v65, v2
	v_fma_f16 v4, v93, s0, v4
	v_fma_f16 v64, v93, s4, v64
	;; [unrolled: 1-line block ×4, first 2 shown]
	v_add_f16_e32 v64, v60, v8
	v_fma_f16 v64, v64, -0.5, v85
	v_sub_f16_e32 v60, v62, v60
	v_sub_f16_e32 v8, v48, v8
	v_add_f16_e32 v8, v60, v8
	v_fma_f16 v48, v99, s1, v64
	v_fma_f16 v60, v99, s6, v64
	v_fma_f16 v48, v97, s4, v48
	v_fma_f16 v60, v97, s0, v60
	v_fma_f16 v48, v8, s5, v48
	v_fma_f16 v8, v8, s5, v60
	v_add_f16_e32 v60, v67, v0
	v_fma_f16 v60, v60, -0.5, v66
	v_sub_f16_e32 v62, v74, v67
	v_sub_f16_e32 v0, v6, v0
	v_fma_f16 v6, v82, s6, v60
	v_fma_f16 v60, v82, s1, v60
	v_add_f16_e32 v0, v62, v0
	v_fma_f16 v6, v80, s0, v6
	v_fma_f16 v60, v80, s4, v60
	v_fma_f16 v6, v0, s5, v6
	v_fma_f16 v0, v0, s5, v60
	v_add_f16_e32 v60, v61, v58
	v_fma_f16 v59, v60, -0.5, v59
	v_sub_f16_e32 v46, v46, v61
	v_sub_f16_e32 v45, v45, v58
	v_add_f16_e32 v45, v46, v45
	v_fma_f16 v46, v86, s1, v59
	v_fma_f16 v46, v84, s4, v46
	v_fma_f16 v58, v86, s6, v59
	v_fma_f16 v46, v45, s5, v46
	v_fma_f16 v58, v84, s0, v58
	v_fma_f16 v45, v45, s5, v58
	v_mul_f16_e32 v58, 0x3b9c, v46
	v_fma_f16 v58, v6, s5, v58
	v_mul_f16_e32 v6, 0xbb9c, v6
	v_fma_f16 v6, v46, s5, v6
	v_mul_f16_e32 v46, 0x34f2, v0
	v_fma_f16 v46, v45, s1, -v46
	v_mul_f16_e32 v45, 0x34f2, v45
	v_fma_f16 v0, v0, s6, -v45
	v_add_f16_e32 v45, v4, v58
	v_add_f16_e32 v59, v48, v6
	v_pack_b32_f16 v45, v45, v59
	v_add_f16_e32 v59, v2, v46
	v_add_f16_e32 v60, v8, v0
	v_pack_b32_f16 v59, v59, v60
	ds_write2_b32 v51, v45, v59 offset0:20 offset1:30
	v_fma_f16 v45, v93, s6, v92
	v_fma_f16 v45, v95, s4, v45
	v_fma_f16 v45, v53, s5, v45
	v_fma_f16 v53, v97, s1, v96
	v_fma_f16 v53, v99, s0, v53
	v_fma_f16 v53, v57, s5, v53
	v_fma_f16 v57, v80, s6, v79
	v_fma_f16 v57, v82, s4, v57
	v_fma_f16 v59, v84, s1, v83
	v_fma_f16 v57, v77, s5, v57
	v_fma_f16 v59, v86, s0, v59
	v_fma_f16 v59, v78, s5, v59
	v_mul_f16_e32 v60, 0x3a79, v57
	v_fma_f16 v60, v59, s0, -v60
	v_mul_f16_e32 v59, 0x3a79, v59
	v_fma_f16 v57, v57, s4, -v59
	v_sub_f16_e32 v52, v52, v89
	v_sub_f16_e32 v59, v88, v90
	v_add_f16_e32 v61, v45, v60
	v_add_f16_e32 v62, v53, v57
	v_pack_b32_f16 v61, v61, v62
	v_pack_b32_f16 v52, v52, v59
	ds_write2_b32 v51, v61, v52 offset0:40 offset1:50
	v_sub_f16_e32 v52, v94, v87
	v_sub_f16_e32 v4, v4, v58
	;; [unrolled: 1-line block ×4, first 2 shown]
	v_pack_b32_f16 v48, v52, v58
	v_pack_b32_f16 v4, v4, v6
	ds_write2_b32 v51, v48, v4 offset0:60 offset1:70
	v_sub_f16_e32 v2, v2, v46
	v_sub_f16_e32 v4, v45, v60
	;; [unrolled: 1-line block ×4, first 2 shown]
	v_pack_b32_f16 v0, v2, v0
	v_pack_b32_f16 v2, v4, v6
	ds_write2_b32 v51, v0, v2 offset0:80 offset1:90
	v_lshrrev_b32_e32 v0, 16, v1
	v_mul_f16_sdwa v2, v0, v7 dst_sel:DWORD dst_unused:UNUSED_PAD src0_sel:DWORD src1_sel:WORD_1
	v_fma_f16 v2, v1, v7, -v2
	v_mul_f16_sdwa v1, v1, v7 dst_sel:DWORD dst_unused:UNUSED_PAD src0_sel:DWORD src1_sel:WORD_1
	v_fma_f16 v0, v0, v7, v1
	v_sub_f16_e32 v1, v68, v47
	v_sub_f16_e32 v4, v76, v75
	v_add_f16_e32 v1, v1, v4
	v_sub_f16_e32 v4, v72, v11
	v_sub_f16_e32 v6, v5, v3
	v_add_f16_e32 v4, v4, v6
	;; [unrolled: 3-line block ×4, first 2 shown]
	v_add_f16_e32 v7, v7, v8
	v_add_f16_e32 v8, v54, v56
	v_fma_f16 v51, v51, -0.5, v70
	v_sub_f16_e32 v52, v10, v2
	v_fma_f16 v8, v8, -0.5, v71
	v_sub_f16_e32 v45, v73, v0
	v_fma_f16 v53, v52, s6, v51
	v_sub_f16_e32 v57, v54, v56
	v_fma_f16 v46, v45, s1, v8
	;; [unrolled: 2-line block ×3, first 2 shown]
	v_fma_f16 v46, v48, s0, v46
	v_fma_f16 v53, v7, s5, v53
	;; [unrolled: 1-line block ×3, first 2 shown]
	v_mul_f16_e32 v58, 0x38b4, v53
	v_fma_f16 v58, v46, s7, v58
	v_mul_f16_e32 v46, 0xb8b4, v46
	v_fma_f16 v46, v53, s7, v46
	v_lshrrev_b32_e32 v53, 16, v63
	v_add_f16_e32 v50, v63, v68
	v_add_f16_e32 v59, v53, v72
	v_add_f16_e32 v60, v71, v10
	v_add_f16_e32 v61, v70, v73
	v_add_f16_e32 v50, v50, v47
	v_add_f16_e32 v59, v59, v11
	v_add_f16_e32 v60, v60, v54
	v_add_f16_e32 v61, v61, v55
	v_add_f16_e32 v50, v50, v75
	v_add_f16_e32 v59, v59, v3
	v_add_f16_e32 v60, v60, v56
	v_add_f16_e32 v61, v61, v9
	v_add_f16_e32 v50, v50, v76
	v_add_f16_e32 v59, v59, v5
	v_add_f16_e32 v60, v60, v2
	v_add_f16_e32 v61, v61, v0
	v_add_f16_e32 v62, v50, v60
	v_add_f16_e32 v64, v59, v61
	v_pack_b32_f16 v62, v62, v64
	v_add_f16_e32 v64, v47, v75
	v_add_f16_e32 v69, v11, v3
	v_fma_f16 v64, v64, -0.5, v63
	v_sub_f16_e32 v65, v72, v5
	v_fma_f16 v69, v69, -0.5, v53
	v_sub_f16_e32 v74, v68, v76
	v_fma_f16 v66, v65, s1, v64
	v_sub_f16_e32 v67, v11, v3
	v_fma_f16 v77, v74, s6, v69
	;; [unrolled: 2-line block ×3, first 2 shown]
	v_fma_f16 v77, v78, s4, v77
	v_fma_f16 v66, v1, s5, v66
	;; [unrolled: 1-line block ×3, first 2 shown]
	v_add_f16_e32 v79, v66, v58
	v_add_f16_e32 v80, v77, v46
	v_pack_b32_f16 v79, v79, v80
	ds_write2_b32 v49, v62, v79 offset1:10
	v_fma_f16 v62, v65, s6, v64
	v_fma_f16 v62, v67, s4, v62
	;; [unrolled: 1-line block ×3, first 2 shown]
	v_add_f16_e32 v62, v68, v76
	v_fma_f16 v8, v45, s6, v8
	v_fma_f16 v62, v62, -0.5, v63
	v_sub_f16_e32 v47, v47, v68
	v_sub_f16_e32 v63, v75, v76
	v_fma_f16 v8, v48, s4, v8
	v_add_f16_e32 v47, v47, v63
	v_fma_f16 v63, v67, s6, v62
	v_fma_f16 v62, v67, s1, v62
	;; [unrolled: 1-line block ×3, first 2 shown]
	v_add_f16_e32 v8, v10, v2
	v_fma_f16 v63, v65, s0, v63
	v_fma_f16 v62, v65, s4, v62
	v_fma_f16 v8, v8, -0.5, v71
	v_sub_f16_e32 v10, v54, v10
	v_sub_f16_e32 v2, v56, v2
	v_fma_f16 v63, v47, s5, v63
	v_fma_f16 v47, v47, s5, v62
	;; [unrolled: 1-line block ×3, first 2 shown]
	v_add_f16_e32 v2, v10, v2
	v_fma_f16 v10, v48, s6, v8
	v_fma_f16 v8, v48, s1, v8
	;; [unrolled: 1-line block ×6, first 2 shown]
	v_add_f16_e32 v62, v72, v5
	v_fma_f16 v10, v2, s5, v10
	v_fma_f16 v2, v2, s5, v8
	;; [unrolled: 1-line block ×3, first 2 shown]
	v_fma_f16 v53, v62, -0.5, v53
	v_sub_f16_e32 v11, v11, v72
	v_sub_f16_e32 v3, v3, v5
	v_fma_f16 v8, v57, s0, v8
	v_add_f16_e32 v3, v11, v3
	v_fma_f16 v5, v78, s1, v53
	v_fma_f16 v11, v78, s6, v53
	;; [unrolled: 1-line block ×3, first 2 shown]
	v_add_f16_e32 v8, v73, v0
	v_fma_f16 v5, v74, s4, v5
	v_fma_f16 v11, v74, s0, v11
	v_fma_f16 v8, v8, -0.5, v70
	v_fma_f16 v5, v3, s5, v5
	v_fma_f16 v3, v3, s5, v11
	v_sub_f16_e32 v11, v55, v73
	v_sub_f16_e32 v0, v9, v0
	v_fma_f16 v9, v57, s1, v8
	v_add_f16_e32 v0, v11, v0
	v_fma_f16 v8, v57, s6, v8
	v_fma_f16 v9, v52, s4, v9
	;; [unrolled: 1-line block ×5, first 2 shown]
	v_mul_f16_e32 v8, 0x3b9c, v9
	v_fma_f16 v8, v10, s5, v8
	v_mul_f16_e32 v10, 0xbb9c, v10
	v_fma_f16 v9, v9, s5, v10
	v_mul_f16_e32 v10, 0x34f2, v2
	v_fma_f16 v10, v0, s1, -v10
	v_mul_f16_e32 v0, 0x34f2, v0
	v_fma_f16 v0, v2, s6, -v0
	v_mul_f16_e32 v2, 0x3a79, v6
	v_fma_f16 v2, v7, s0, -v2
	v_mul_f16_e32 v7, 0x3a79, v7
	v_fma_f16 v6, v6, s4, -v7
	v_sub_f16_e32 v7, v50, v60
	v_add_f16_e32 v48, v47, v10
	v_sub_f16_e32 v10, v47, v10
	v_add_f16_e32 v47, v1, v2
	;; [unrolled: 2-line block ×5, first 2 shown]
	v_sub_f16_e32 v4, v4, v6
	v_pack_b32_f16 v0, v10, v0
	v_pack_b32_f16 v1, v1, v4
	s_movk_i32 s0, 0x64
	v_sub_f16_e32 v2, v59, v61
	ds_write2_b32 v49, v0, v1 offset0:80 offset1:90
	v_add_u32_e32 v0, 0xffffff9c, v14
	v_cmp_gt_u32_e64 s[0:1], s0, v14
	v_sub_f16_e32 v11, v66, v58
	v_add_f16_e32 v45, v63, v8
	v_sub_f16_e32 v8, v63, v8
	v_sub_f16_e32 v46, v77, v46
	v_pack_b32_f16 v3, v47, v3
	v_pack_b32_f16 v2, v7, v2
	v_cndmask_b32_e64 v61, v0, v14, s[0:1]
	ds_write2_b32 v49, v3, v2 offset0:40 offset1:50
	v_pack_b32_f16 v2, v11, v46
	v_pack_b32_f16 v3, v8, v5
	v_mul_i32_i24_e32 v0, 3, v61
	v_mov_b32_e32 v1, 0
	ds_write2_b32 v49, v2, v3 offset0:60 offset1:70
	v_lshlrev_b64 v[2:3], 2, v[0:1]
	v_mov_b32_e32 v47, s13
	v_add_co_u32_e64 v2, s[0:1], s12, v2
	v_pack_b32_f16 v6, v45, v50
	v_pack_b32_f16 v9, v48, v9
	v_addc_co_u32_e64 v3, s[0:1], v47, v3, s[0:1]
	ds_write2_b32 v49, v6, v9 offset0:20 offset1:30
	s_waitcnt lgkmcnt(0)
	s_barrier
	global_load_dwordx3 v[3:5], v[2:3], off offset:360
	v_lshrrev_b16_e32 v0, 2, v30
	v_mul_u32_u24_e32 v0, 0x147b, v0
	v_lshrrev_b32_e32 v0, 17, v0
	v_mul_lo_u16_e32 v2, 0x64, v0
	v_sub_u16_e32 v62, v30, v2
	v_mul_u32_u24_e32 v2, 3, v62
	v_lshlrev_b32_e32 v2, 2, v2
	global_load_dwordx3 v[6:8], v2, s[12:13] offset:360
	v_lshrrev_b16_e32 v2, 2, v28
	v_mul_u32_u24_e32 v2, 0x147b, v2
	v_lshrrev_b32_e32 v63, 17, v2
	v_mul_lo_u16_e32 v2, 0x64, v63
	v_sub_u16_e32 v64, v28, v2
	v_mul_u32_u24_e32 v2, 3, v64
	v_lshlrev_b32_e32 v2, 2, v2
	global_load_dwordx3 v[9:11], v2, s[12:13] offset:360
	;; [unrolled: 8-line block ×4, first 2 shown]
	v_lshl_add_u32 v45, v34, 2, 0
	ds_read_b32 v48, v45
	v_lshl_add_u32 v46, v28, 2, 0
	v_add_u32_e32 v2, 0x1600, v36
	ds_read_b32 v69, v46
	ds_read_b32 v70, v44
	;; [unrolled: 1-line block ×3, first 2 shown]
	ds_read2_b32 v[57:58], v2 offset0:32 offset1:192
	s_waitcnt lgkmcnt(4)
	v_lshrrev_b32_e32 v49, 16, v48
	ds_read_b32 v77, v41
	s_movk_i32 s0, 0x63
	v_cmp_lt_u32_e64 s[0:1], s0, v14
	v_lshlrev_b32_e32 v61, 2, v61
	v_mul_u32_u24_e32 v0, 0x640, v0
	s_movk_i32 s4, 0x1000
	s_add_u32 s6, s12, 0x31d8
	s_addc_u32 s7, s13, 0
	s_waitcnt vmcnt(4)
	v_mul_f16_sdwa v50, v3, v49 dst_sel:DWORD dst_unused:UNUSED_PAD src0_sel:WORD_1 src1_sel:DWORD
	v_fma_f16 v72, v3, v48, -v50
	v_mul_f16_sdwa v48, v3, v48 dst_sel:DWORD dst_unused:UNUSED_PAD src0_sel:WORD_1 src1_sel:DWORD
	v_fma_f16 v73, v3, v49, v48
	v_add_u32_e32 v49, 0x2500, v36
	ds_read2_b32 v[59:60], v49 offset0:32 offset1:192
	s_waitcnt lgkmcnt(2)
	v_lshrrev_b32_e32 v3, 16, v58
	v_mul_f16_sdwa v48, v4, v58 dst_sel:DWORD dst_unused:UNUSED_PAD src0_sel:WORD_1 src1_sel:DWORD
	v_fma_f16 v74, v4, v3, v48
	v_mul_f16_sdwa v3, v4, v3 dst_sel:DWORD dst_unused:UNUSED_PAD src0_sel:WORD_1 src1_sel:DWORD
	v_fma_f16 v58, v4, v58, -v3
	s_waitcnt lgkmcnt(0)
	v_lshrrev_b32_e32 v3, 16, v59
	v_mul_f16_sdwa v4, v5, v59 dst_sel:DWORD dst_unused:UNUSED_PAD src0_sel:WORD_1 src1_sel:DWORD
	v_fma_f16 v75, v5, v3, v4
	v_mul_f16_sdwa v3, v5, v3 dst_sel:DWORD dst_unused:UNUSED_PAD src0_sel:WORD_1 src1_sel:DWORD
	v_fma_f16 v59, v5, v59, -v3
	v_lshrrev_b32_e32 v3, 16, v57
	ds_read_b32 v48, v36 offset:12160
	s_waitcnt vmcnt(3)
	v_mul_f16_sdwa v4, v3, v6 dst_sel:DWORD dst_unused:UNUSED_PAD src0_sel:DWORD src1_sel:WORD_1
	v_fma_f16 v76, v57, v6, -v4
	v_mul_f16_sdwa v4, v57, v6 dst_sel:DWORD dst_unused:UNUSED_PAD src0_sel:DWORD src1_sel:WORD_1
	v_add_u32_e32 v50, 0x2000, v36
	v_fma_f16 v57, v3, v6, v4
	ds_read2_b32 v[4:5], v50 offset0:32 offset1:192
	s_waitcnt lgkmcnt(1)
	v_lshrrev_b32_e32 v3, 16, v48
	v_mul_f16_sdwa v6, v3, v8 dst_sel:DWORD dst_unused:UNUSED_PAD src0_sel:DWORD src1_sel:WORD_1
	v_fma_f16 v78, v48, v8, -v6
	v_mul_f16_sdwa v6, v48, v8 dst_sel:DWORD dst_unused:UNUSED_PAD src0_sel:DWORD src1_sel:WORD_1
	v_fma_f16 v79, v3, v8, v6
	s_waitcnt lgkmcnt(0)
	v_lshrrev_b32_e32 v3, 16, v5
	v_mul_f16_sdwa v6, v5, v7 dst_sel:DWORD dst_unused:UNUSED_PAD src0_sel:DWORD src1_sel:WORD_1
	v_fma_f16 v80, v3, v7, v6
	v_mul_f16_sdwa v3, v3, v7 dst_sel:DWORD dst_unused:UNUSED_PAD src0_sel:DWORD src1_sel:WORD_1
	v_fma_f16 v81, v5, v7, -v3
	v_lshrrev_b32_e32 v7, 16, v4
	v_add_u32_e32 v3, 0x1100, v36
	ds_read2_b32 v[5:6], v3 offset0:32 offset1:192
	s_waitcnt vmcnt(2)
	v_mul_f16_sdwa v8, v7, v10 dst_sel:DWORD dst_unused:UNUSED_PAD src0_sel:DWORD src1_sel:WORD_1
	v_fma_f16 v82, v4, v10, -v8
	v_mul_f16_sdwa v4, v4, v10 dst_sel:DWORD dst_unused:UNUSED_PAD src0_sel:DWORD src1_sel:WORD_1
	v_add_u32_e32 v48, 0x2a00, v36
	v_fma_f16 v10, v7, v10, v4
	ds_read2_b32 v[7:8], v48 offset0:32 offset1:192
	s_waitcnt lgkmcnt(1)
	v_lshrrev_b32_e32 v4, 16, v6
	v_mul_f16_sdwa v83, v6, v9 dst_sel:DWORD dst_unused:UNUSED_PAD src0_sel:DWORD src1_sel:WORD_1
	v_fma_f16 v83, v4, v9, v83
	v_mul_f16_sdwa v4, v4, v9 dst_sel:DWORD dst_unused:UNUSED_PAD src0_sel:DWORD src1_sel:WORD_1
	v_fma_f16 v6, v6, v9, -v4
	s_waitcnt lgkmcnt(0)
	v_lshrrev_b32_e32 v4, 16, v8
	v_mul_f16_sdwa v9, v8, v11 dst_sel:DWORD dst_unused:UNUSED_PAD src0_sel:DWORD src1_sel:WORD_1
	v_fma_f16 v9, v4, v11, v9
	v_mul_f16_sdwa v4, v4, v11 dst_sel:DWORD dst_unused:UNUSED_PAD src0_sel:DWORD src1_sel:WORD_1
	v_fma_f16 v8, v8, v11, -v4
	v_lshrrev_b32_e32 v4, 16, v5
	s_waitcnt vmcnt(1)
	v_mul_f16_sdwa v11, v4, v51 dst_sel:DWORD dst_unused:UNUSED_PAD src0_sel:DWORD src1_sel:WORD_1
	v_fma_f16 v11, v5, v51, -v11
	v_mul_f16_sdwa v5, v5, v51 dst_sel:DWORD dst_unused:UNUSED_PAD src0_sel:DWORD src1_sel:WORD_1
	v_fma_f16 v84, v4, v51, v5
	v_add_u32_e32 v51, 0x1b00, v36
	ds_read2_b32 v[4:5], v51 offset0:32 offset1:192
	v_lshrrev_b32_e32 v85, 16, v7
	v_mul_f16_sdwa v86, v85, v53 dst_sel:DWORD dst_unused:UNUSED_PAD src0_sel:DWORD src1_sel:WORD_1
	v_fma_f16 v86, v7, v53, -v86
	v_mul_f16_sdwa v7, v7, v53 dst_sel:DWORD dst_unused:UNUSED_PAD src0_sel:DWORD src1_sel:WORD_1
	v_fma_f16 v7, v85, v53, v7
	s_waitcnt lgkmcnt(0)
	v_lshrrev_b32_e32 v53, 16, v5
	v_mul_f16_sdwa v85, v5, v52 dst_sel:DWORD dst_unused:UNUSED_PAD src0_sel:DWORD src1_sel:WORD_1
	v_fma_f16 v85, v53, v52, v85
	v_mul_f16_sdwa v53, v53, v52 dst_sel:DWORD dst_unused:UNUSED_PAD src0_sel:DWORD src1_sel:WORD_1
	v_fma_f16 v52, v5, v52, -v53
	v_lshrrev_b32_e32 v5, 16, v4
	s_waitcnt vmcnt(0)
	v_mul_f16_sdwa v53, v5, v55 dst_sel:DWORD dst_unused:UNUSED_PAD src0_sel:DWORD src1_sel:WORD_1
	v_fma_f16 v53, v4, v55, -v53
	v_mul_f16_sdwa v4, v4, v55 dst_sel:DWORD dst_unused:UNUSED_PAD src0_sel:DWORD src1_sel:WORD_1
	v_fma_f16 v55, v5, v55, v4
	ds_read2st64_b32 v[4:5], v36 offset1:15
	v_lshrrev_b32_e32 v87, 16, v60
	v_mul_f16_sdwa v88, v87, v56 dst_sel:DWORD dst_unused:UNUSED_PAD src0_sel:DWORD src1_sel:WORD_1
	v_fma_f16 v88, v60, v56, -v88
	v_mul_f16_sdwa v60, v60, v56 dst_sel:DWORD dst_unused:UNUSED_PAD src0_sel:DWORD src1_sel:WORD_1
	v_fma_f16 v56, v87, v56, v60
	s_waitcnt lgkmcnt(0)
	v_lshrrev_b32_e32 v60, 16, v5
	v_mul_f16_sdwa v87, v54, v5 dst_sel:DWORD dst_unused:UNUSED_PAD src0_sel:WORD_1 src1_sel:DWORD
	v_fma_f16 v87, v54, v60, v87
	v_mul_f16_sdwa v60, v54, v60 dst_sel:DWORD dst_unused:UNUSED_PAD src0_sel:WORD_1 src1_sel:DWORD
	v_fma_f16 v5, v54, v5, -v60
	v_mov_b32_e32 v60, 0x640
	v_sub_f16_e32 v54, v4, v58
	v_lshrrev_b32_e32 v58, 16, v4
	v_cndmask_b32_e64 v60, 0, v60, s[0:1]
	v_add3_u32 v60, 0, v60, v61
	v_sub_f16_e32 v61, v58, v74
	v_sub_f16_e32 v59, v72, v59
	;; [unrolled: 1-line block ×3, first 2 shown]
	v_fma_f16 v4, v4, 2.0, -v54
	v_fma_f16 v58, v58, 2.0, -v61
	;; [unrolled: 1-line block ×4, first 2 shown]
	v_sub_f16_e32 v72, v4, v72
	v_sub_f16_e32 v73, v58, v73
	v_fma_f16 v4, v4, 2.0, -v72
	v_fma_f16 v58, v58, 2.0, -v73
	v_pack_b32_f16 v4, v4, v58
	v_sub_f16_e32 v58, v54, v74
	v_add_f16_e32 v59, v61, v59
	v_fma_f16 v54, v54, 2.0, -v58
	v_fma_f16 v61, v61, 2.0, -v59
	v_pack_b32_f16 v54, v54, v61
	s_barrier
	ds_write2_b32 v60, v4, v54 offset1:100
	v_pack_b32_f16 v4, v72, v73
	v_pack_b32_f16 v54, v58, v59
	v_add_u32_e32 v58, 0x200, v60
	ds_write2_b32 v58, v4, v54 offset0:72 offset1:172
	v_mul_u32_u24_e32 v4, 0x640, v67
	v_lshlrev_b32_e32 v54, 2, v68
	v_add3_u32 v4, 0, v4, v54
	v_lshrrev_b32_e32 v54, 16, v70
	v_sub_f16_e32 v53, v70, v53
	v_sub_f16_e32 v55, v54, v55
	;; [unrolled: 1-line block ×4, first 2 shown]
	v_fma_f16 v58, v70, 2.0, -v53
	v_fma_f16 v54, v54, 2.0, -v55
	;; [unrolled: 1-line block ×4, first 2 shown]
	v_sub_f16_e32 v5, v58, v5
	v_sub_f16_e32 v60, v54, v60
	v_fma_f16 v58, v58, 2.0, -v5
	v_fma_f16 v54, v54, 2.0, -v60
	v_pack_b32_f16 v54, v58, v54
	v_sub_f16_e32 v56, v53, v56
	v_add_f16_e32 v58, v55, v59
	v_fma_f16 v53, v53, 2.0, -v56
	v_fma_f16 v55, v55, 2.0, -v58
	v_pack_b32_f16 v53, v53, v55
	ds_write2_b32 v4, v54, v53 offset1:100
	v_pack_b32_f16 v5, v5, v60
	v_pack_b32_f16 v53, v56, v58
	v_add_u32_e32 v4, 0x200, v4
	ds_write2_b32 v4, v5, v53 offset0:72 offset1:172
	v_mul_u32_u24_e32 v4, 0x640, v65
	v_lshlrev_b32_e32 v5, 2, v66
	v_add3_u32 v4, 0, v4, v5
	v_sub_f16_e32 v5, v77, v52
	v_lshrrev_b32_e32 v52, 16, v77
	v_sub_f16_e32 v53, v52, v85
	v_sub_f16_e32 v55, v11, v86
	;; [unrolled: 1-line block ×3, first 2 shown]
	v_fma_f16 v54, v77, 2.0, -v5
	v_fma_f16 v52, v52, 2.0, -v53
	v_fma_f16 v11, v11, 2.0, -v55
	v_fma_f16 v56, v84, 2.0, -v7
	v_sub_f16_e32 v11, v54, v11
	v_sub_f16_e32 v56, v52, v56
	v_fma_f16 v54, v54, 2.0, -v11
	v_fma_f16 v52, v52, 2.0, -v56
	v_pack_b32_f16 v52, v54, v52
	v_sub_f16_e32 v7, v5, v7
	v_add_f16_e32 v54, v53, v55
	v_fma_f16 v5, v5, 2.0, -v7
	v_fma_f16 v53, v53, 2.0, -v54
	v_pack_b32_f16 v5, v5, v53
	ds_write2_b32 v4, v52, v5 offset1:100
	v_pack_b32_f16 v5, v11, v56
	v_pack_b32_f16 v7, v7, v54
	v_add_u32_e32 v4, 0x200, v4
	ds_write2_b32 v4, v5, v7 offset0:72 offset1:172
	v_mul_u32_u24_e32 v4, 0x640, v63
	v_lshlrev_b32_e32 v5, 2, v64
	v_lshrrev_b32_e32 v7, 16, v69
	v_add3_u32 v4, 0, v4, v5
	v_sub_f16_e32 v5, v69, v82
	v_sub_f16_e32 v10, v7, v10
	;; [unrolled: 1-line block ×4, first 2 shown]
	v_fma_f16 v11, v69, 2.0, -v5
	v_fma_f16 v7, v7, 2.0, -v10
	;; [unrolled: 1-line block ×4, first 2 shown]
	v_sub_f16_e32 v6, v11, v6
	v_sub_f16_e32 v52, v7, v52
	;; [unrolled: 1-line block ×3, first 2 shown]
	v_add_f16_e32 v8, v10, v8
	v_fma_f16 v11, v11, 2.0, -v6
	v_fma_f16 v7, v7, 2.0, -v52
	;; [unrolled: 1-line block ×4, first 2 shown]
	v_pack_b32_f16 v7, v11, v7
	v_pack_b32_f16 v5, v5, v10
	ds_write2_b32 v4, v7, v5 offset1:100
	v_pack_b32_f16 v5, v6, v52
	v_pack_b32_f16 v6, v9, v8
	v_add_u32_e32 v4, 0x200, v4
	ds_write2_b32 v4, v5, v6 offset0:72 offset1:172
	v_lshlrev_b32_e32 v4, 2, v62
	v_lshrrev_b32_e32 v5, 16, v71
	v_add3_u32 v0, 0, v0, v4
	v_sub_f16_e32 v4, v71, v81
	v_sub_f16_e32 v6, v5, v80
	v_sub_f16_e32 v8, v76, v78
	v_sub_f16_e32 v9, v57, v79
	v_fma_f16 v7, v71, 2.0, -v4
	v_fma_f16 v5, v5, 2.0, -v6
	;; [unrolled: 1-line block ×4, first 2 shown]
	v_sub_f16_e32 v10, v7, v10
	v_sub_f16_e32 v11, v5, v11
	v_fma_f16 v7, v7, 2.0, -v10
	v_fma_f16 v5, v5, 2.0, -v11
	v_pack_b32_f16 v5, v7, v5
	v_sub_f16_e32 v7, v4, v9
	v_add_f16_e32 v8, v6, v8
	v_fma_f16 v4, v4, 2.0, -v7
	v_fma_f16 v6, v6, 2.0, -v8
	v_pack_b32_f16 v4, v4, v6
	ds_write2_b32 v0, v5, v4 offset1:100
	v_pack_b32_f16 v4, v10, v11
	v_pack_b32_f16 v5, v7, v8
	v_add_u32_e32 v0, 0x200, v0
	ds_write2_b32 v0, v4, v5 offset0:72 offset1:172
	v_mul_u32_u24_e32 v0, 3, v14
	v_lshlrev_b32_e32 v0, 2, v0
	s_waitcnt lgkmcnt(0)
	s_barrier
	global_load_dwordx3 v[4:6], v0, s[12:13] offset:1560
	v_add_co_u32_e64 v7, s[0:1], s12, v0
	v_addc_co_u32_e64 v8, s[0:1], 0, v47, s[0:1]
	v_add_co_u32_e64 v10, s[0:1], s4, v7
	v_addc_co_u32_e64 v11, s[0:1], 0, v8, s[0:1]
	global_load_dwordx3 v[7:9], v[10:11], off offset:344
	global_load_dwordx3 v[52:54], v0, s[12:13] offset:2520
	s_movk_i32 s0, 0x50
	v_add_u32_e32 v10, 0xffffffb0, v14
	v_cmp_gt_u32_e64 s[0:1], s0, v14
	v_mul_i32_i24_e32 v0, 3, v18
	v_cndmask_b32_e64 v61, v10, v22, s[0:1]
	v_lshlrev_b64 v[10:11], 2, v[0:1]
	v_mul_i32_i24_e32 v0, 3, v61
	v_lshlrev_b64 v[0:1], 2, v[0:1]
	v_add_co_u32_e64 v0, s[0:1], s12, v0
	v_addc_co_u32_e64 v1, s[0:1], v47, v1, s[0:1]
	global_load_dwordx3 v[55:57], v[0:1], off offset:1560
	v_add_co_u32_e64 v0, s[0:1], s12, v10
	v_addc_co_u32_e64 v1, s[0:1], v47, v11, s[0:1]
	global_load_dwordx3 v[58:60], v[0:1], off offset:1560
	ds_read_b32 v10, v45
	ds_read_b32 v62, v46
	;; [unrolled: 1-line block ×4, first 2 shown]
	ds_read2_b32 v[0:1], v2 offset0:32 offset1:192
	s_waitcnt lgkmcnt(4)
	v_lshrrev_b32_e32 v11, 16, v10
	ds_read_b32 v69, v41
	s_movk_i32 s0, 0x4f
	v_cmp_lt_u32_e64 s[0:1], s0, v14
	s_waitcnt vmcnt(4)
	v_mul_f16_sdwa v2, v4, v11 dst_sel:DWORD dst_unused:UNUSED_PAD src0_sel:WORD_1 src1_sel:DWORD
	v_fma_f16 v65, v4, v10, -v2
	v_mul_f16_sdwa v2, v4, v10 dst_sel:DWORD dst_unused:UNUSED_PAD src0_sel:WORD_1 src1_sel:DWORD
	v_fma_f16 v66, v4, v11, v2
	ds_read2_b32 v[10:11], v49 offset0:32 offset1:192
	s_waitcnt lgkmcnt(2)
	v_lshrrev_b32_e32 v2, 16, v1
	v_mul_f16_sdwa v4, v5, v1 dst_sel:DWORD dst_unused:UNUSED_PAD src0_sel:WORD_1 src1_sel:DWORD
	v_fma_f16 v67, v5, v2, v4
	v_mul_f16_sdwa v2, v5, v2 dst_sel:DWORD dst_unused:UNUSED_PAD src0_sel:WORD_1 src1_sel:DWORD
	v_fma_f16 v5, v5, v1, -v2
	s_waitcnt lgkmcnt(0)
	v_lshrrev_b32_e32 v1, 16, v10
	v_mul_f16_sdwa v2, v6, v10 dst_sel:DWORD dst_unused:UNUSED_PAD src0_sel:WORD_1 src1_sel:DWORD
	v_fma_f16 v68, v6, v1, v2
	v_mul_f16_sdwa v1, v6, v1 dst_sel:DWORD dst_unused:UNUSED_PAD src0_sel:WORD_1 src1_sel:DWORD
	v_fma_f16 v6, v6, v10, -v1
	v_lshrrev_b32_e32 v1, 16, v0
	ds_read_b32 v2, v36 offset:12160
	s_waitcnt vmcnt(3)
	v_mul_f16_sdwa v4, v1, v7 dst_sel:DWORD dst_unused:UNUSED_PAD src0_sel:DWORD src1_sel:WORD_1
	v_fma_f16 v10, v0, v7, -v4
	v_mul_f16_sdwa v0, v0, v7 dst_sel:DWORD dst_unused:UNUSED_PAD src0_sel:DWORD src1_sel:WORD_1
	v_fma_f16 v7, v1, v7, v0
	ds_read2_b32 v[0:1], v50 offset0:32 offset1:192
	s_waitcnt lgkmcnt(1)
	v_lshrrev_b32_e32 v4, 16, v2
	v_mul_f16_sdwa v70, v4, v9 dst_sel:DWORD dst_unused:UNUSED_PAD src0_sel:DWORD src1_sel:WORD_1
	v_fma_f16 v70, v2, v9, -v70
	v_mul_f16_sdwa v2, v2, v9 dst_sel:DWORD dst_unused:UNUSED_PAD src0_sel:DWORD src1_sel:WORD_1
	v_fma_f16 v9, v4, v9, v2
	s_waitcnt lgkmcnt(0)
	v_lshrrev_b32_e32 v2, 16, v1
	v_mul_f16_sdwa v4, v1, v8 dst_sel:DWORD dst_unused:UNUSED_PAD src0_sel:DWORD src1_sel:WORD_1
	v_fma_f16 v71, v2, v8, v4
	v_mul_f16_sdwa v2, v2, v8 dst_sel:DWORD dst_unused:UNUSED_PAD src0_sel:DWORD src1_sel:WORD_1
	v_lshrrev_b32_e32 v4, 16, v0
	v_fma_f16 v8, v1, v8, -v2
	ds_read2_b32 v[1:2], v3 offset0:32 offset1:192
	s_waitcnt vmcnt(2)
	v_mul_f16_sdwa v3, v4, v53 dst_sel:DWORD dst_unused:UNUSED_PAD src0_sel:DWORD src1_sel:WORD_1
	v_fma_f16 v72, v0, v53, -v3
	v_mul_f16_sdwa v0, v0, v53 dst_sel:DWORD dst_unused:UNUSED_PAD src0_sel:DWORD src1_sel:WORD_1
	v_fma_f16 v53, v4, v53, v0
	ds_read2_b32 v[3:4], v48 offset0:32 offset1:192
	s_waitcnt lgkmcnt(1)
	v_lshrrev_b32_e32 v0, 16, v2
	v_mul_f16_sdwa v73, v2, v52 dst_sel:DWORD dst_unused:UNUSED_PAD src0_sel:DWORD src1_sel:WORD_1
	v_fma_f16 v73, v0, v52, v73
	v_mul_f16_sdwa v0, v0, v52 dst_sel:DWORD dst_unused:UNUSED_PAD src0_sel:DWORD src1_sel:WORD_1
	v_fma_f16 v2, v2, v52, -v0
	s_waitcnt lgkmcnt(0)
	v_lshrrev_b32_e32 v0, 16, v4
	v_mul_f16_sdwa v52, v4, v54 dst_sel:DWORD dst_unused:UNUSED_PAD src0_sel:DWORD src1_sel:WORD_1
	v_fma_f16 v52, v0, v54, v52
	v_mul_f16_sdwa v0, v0, v54 dst_sel:DWORD dst_unused:UNUSED_PAD src0_sel:DWORD src1_sel:WORD_1
	v_fma_f16 v4, v4, v54, -v0
	v_lshrrev_b32_e32 v0, 16, v1
	s_waitcnt vmcnt(1)
	v_mul_f16_sdwa v54, v0, v55 dst_sel:DWORD dst_unused:UNUSED_PAD src0_sel:DWORD src1_sel:WORD_1
	v_fma_f16 v54, v1, v55, -v54
	v_mul_f16_sdwa v1, v1, v55 dst_sel:DWORD dst_unused:UNUSED_PAD src0_sel:DWORD src1_sel:WORD_1
	v_fma_f16 v55, v0, v55, v1
	ds_read2_b32 v[0:1], v51 offset0:32 offset1:192
	v_lshrrev_b32_e32 v74, 16, v3
	v_mul_f16_sdwa v75, v74, v57 dst_sel:DWORD dst_unused:UNUSED_PAD src0_sel:DWORD src1_sel:WORD_1
	v_fma_f16 v75, v3, v57, -v75
	v_mul_f16_sdwa v3, v3, v57 dst_sel:DWORD dst_unused:UNUSED_PAD src0_sel:DWORD src1_sel:WORD_1
	v_fma_f16 v3, v74, v57, v3
	s_waitcnt lgkmcnt(0)
	v_lshrrev_b32_e32 v57, 16, v1
	v_mul_f16_sdwa v74, v1, v56 dst_sel:DWORD dst_unused:UNUSED_PAD src0_sel:DWORD src1_sel:WORD_1
	v_fma_f16 v74, v57, v56, v74
	v_mul_f16_sdwa v57, v57, v56 dst_sel:DWORD dst_unused:UNUSED_PAD src0_sel:DWORD src1_sel:WORD_1
	v_fma_f16 v56, v1, v56, -v57
	v_lshrrev_b32_e32 v1, 16, v0
	s_waitcnt vmcnt(0)
	v_mul_f16_sdwa v57, v1, v59 dst_sel:DWORD dst_unused:UNUSED_PAD src0_sel:DWORD src1_sel:WORD_1
	v_fma_f16 v57, v0, v59, -v57
	v_mul_f16_sdwa v0, v0, v59 dst_sel:DWORD dst_unused:UNUSED_PAD src0_sel:DWORD src1_sel:WORD_1
	v_fma_f16 v59, v1, v59, v0
	ds_read2st64_b32 v[0:1], v36 offset1:15
	v_lshrrev_b32_e32 v76, 16, v11
	v_mul_f16_sdwa v77, v76, v60 dst_sel:DWORD dst_unused:UNUSED_PAD src0_sel:DWORD src1_sel:WORD_1
	v_fma_f16 v77, v11, v60, -v77
	v_mul_f16_sdwa v11, v11, v60 dst_sel:DWORD dst_unused:UNUSED_PAD src0_sel:DWORD src1_sel:WORD_1
	v_fma_f16 v11, v76, v60, v11
	s_waitcnt lgkmcnt(0)
	v_lshrrev_b32_e32 v60, 16, v1
	v_mul_f16_sdwa v76, v58, v1 dst_sel:DWORD dst_unused:UNUSED_PAD src0_sel:WORD_1 src1_sel:DWORD
	v_fma_f16 v76, v58, v60, v76
	v_mul_f16_sdwa v60, v58, v60 dst_sel:DWORD dst_unused:UNUSED_PAD src0_sel:WORD_1 src1_sel:DWORD
	v_fma_f16 v1, v58, v1, -v60
	v_lshrrev_b32_e32 v58, 16, v0
	v_sub_f16_e32 v5, v0, v5
	v_sub_f16_e32 v60, v58, v67
	;; [unrolled: 1-line block ×4, first 2 shown]
	v_fma_f16 v0, v0, 2.0, -v5
	v_fma_f16 v58, v58, 2.0, -v60
	;; [unrolled: 1-line block ×4, first 2 shown]
	v_sub_f16_e32 v65, v0, v65
	v_sub_f16_e32 v66, v58, v66
	v_fma_f16 v0, v0, 2.0, -v65
	v_fma_f16 v58, v58, 2.0, -v66
	v_pack_b32_f16 v0, v0, v58
	s_barrier
	ds_write_b32 v36, v0
	v_sub_f16_e32 v0, v5, v67
	v_add_f16_e32 v6, v60, v6
	v_fma_f16 v5, v5, 2.0, -v0
	v_fma_f16 v58, v60, 2.0, -v6
	v_pack_b32_f16 v5, v5, v58
	ds_write_b32 v36, v5 offset:1600
	v_pack_b32_f16 v5, v65, v66
	ds_write_b32 v36, v5 offset:3200
	v_pack_b32_f16 v0, v0, v6
	v_lshrrev_b32_e32 v5, 16, v63
	ds_write_b32 v36, v0 offset:4800
	v_sub_f16_e32 v0, v63, v57
	v_sub_f16_e32 v6, v5, v59
	;; [unrolled: 1-line block ×4, first 2 shown]
	v_fma_f16 v57, v63, 2.0, -v0
	v_fma_f16 v5, v5, 2.0, -v6
	;; [unrolled: 1-line block ×4, first 2 shown]
	v_sub_f16_e32 v1, v57, v1
	v_sub_f16_e32 v59, v5, v59
	v_fma_f16 v57, v57, 2.0, -v1
	v_fma_f16 v5, v5, 2.0, -v59
	v_pack_b32_f16 v5, v57, v5
	ds_write_b32 v44, v5
	v_sub_f16_e32 v5, v0, v11
	v_add_f16_e32 v11, v6, v58
	v_fma_f16 v0, v0, 2.0, -v5
	v_fma_f16 v6, v6, 2.0, -v11
	v_pack_b32_f16 v0, v0, v6
	ds_write_b32 v44, v0 offset:1600
	v_pack_b32_f16 v0, v1, v59
	ds_write_b32 v44, v0 offset:3200
	;; [unrolled: 2-line block ×3, first 2 shown]
	v_mov_b32_e32 v0, 0x1900
	v_cndmask_b32_e64 v0, 0, v0, s[0:1]
	v_lshlrev_b32_e32 v1, 2, v61
	v_lshrrev_b32_e32 v5, 16, v69
	v_add3_u32 v0, 0, v0, v1
	v_sub_f16_e32 v1, v69, v56
	v_sub_f16_e32 v6, v5, v74
	;; [unrolled: 1-line block ×4, first 2 shown]
	v_fma_f16 v11, v69, 2.0, -v1
	v_fma_f16 v5, v5, 2.0, -v6
	;; [unrolled: 1-line block ×4, first 2 shown]
	v_sub_f16_e32 v54, v11, v54
	v_sub_f16_e32 v55, v5, v55
	v_fma_f16 v11, v11, 2.0, -v54
	v_fma_f16 v5, v5, 2.0, -v55
	v_pack_b32_f16 v5, v11, v5
	ds_write_b32 v0, v5
	v_sub_f16_e32 v3, v1, v3
	v_add_f16_e32 v5, v6, v56
	v_fma_f16 v1, v1, 2.0, -v3
	v_fma_f16 v6, v6, 2.0, -v5
	v_pack_b32_f16 v1, v1, v6
	ds_write_b32 v0, v1 offset:1600
	v_pack_b32_f16 v1, v54, v55
	ds_write_b32 v0, v1 offset:3200
	;; [unrolled: 2-line block ×3, first 2 shown]
	v_lshrrev_b32_e32 v1, 16, v62
	v_sub_f16_e32 v0, v62, v72
	v_sub_f16_e32 v3, v1, v53
	;; [unrolled: 1-line block ×4, first 2 shown]
	v_fma_f16 v5, v62, 2.0, -v0
	v_fma_f16 v1, v1, 2.0, -v3
	;; [unrolled: 1-line block ×4, first 2 shown]
	v_sub_f16_e32 v2, v5, v2
	v_sub_f16_e32 v11, v1, v11
	v_fma_f16 v5, v5, 2.0, -v2
	v_fma_f16 v1, v1, 2.0, -v11
	v_pack_b32_f16 v1, v5, v1
	v_sub_f16_e32 v5, v64, v8
	v_lshrrev_b32_e32 v8, 16, v64
	v_sub_f16_e32 v52, v8, v71
	v_sub_f16_e32 v54, v10, v70
	;; [unrolled: 1-line block ×3, first 2 shown]
	v_fma_f16 v53, v64, 2.0, -v5
	v_fma_f16 v8, v8, 2.0, -v52
	;; [unrolled: 1-line block ×4, first 2 shown]
	v_sub_f16_e32 v10, v53, v10
	v_sub_f16_e32 v7, v8, v7
	v_fma_f16 v53, v53, 2.0, -v10
	v_fma_f16 v8, v8, 2.0, -v7
	v_pack_b32_f16 v8, v53, v8
	v_add_u32_e32 v53, 0x1a00, v36
	ds_write2_b32 v53, v1, v8 offset0:16 offset1:176
	v_sub_f16_e32 v1, v0, v6
	v_add_f16_e32 v4, v3, v4
	v_fma_f16 v0, v0, 2.0, -v1
	v_fma_f16 v3, v3, 2.0, -v4
	v_pack_b32_f16 v0, v0, v3
	v_pack_b32_f16 v1, v1, v4
	v_sub_f16_e32 v3, v5, v9
	v_add_f16_e32 v4, v52, v54
	v_fma_f16 v5, v5, 2.0, -v3
	v_fma_f16 v6, v52, 2.0, -v4
	v_pack_b32_f16 v5, v5, v6
	v_pack_b32_f16 v2, v2, v11
	ds_write2_b32 v50, v0, v5 offset0:32 offset1:192
	v_pack_b32_f16 v0, v10, v7
	v_add_u32_e32 v5, 0x2600, v36
	ds_write2_b32 v5, v2, v0 offset0:48 offset1:208
	v_pack_b32_f16 v0, v3, v4
	ds_write2_b32 v40, v1, v0 offset0:64 offset1:224
	v_lshlrev_b64 v[0:1], 2, v[34:35]
	v_lshlrev_b64 v[2:3], 2, v[32:33]
	v_add_co_u32_e64 v4, s[0:1], s12, v0
	v_addc_co_u32_e64 v5, s[0:1], v47, v1, s[0:1]
	v_add_co_u32_e64 v6, s[0:1], s12, v2
	v_addc_co_u32_e64 v7, s[0:1], v47, v3, s[0:1]
	;; [unrolled: 2-line block ×3, first 2 shown]
	v_add_co_u32_e64 v54, s[0:1], s4, v4
	v_lshlrev_b64 v[32:33], 2, v[18:19]
	v_addc_co_u32_e64 v55, s[0:1], 0, v5, s[0:1]
	v_add_co_u32_e64 v4, s[0:1], s12, v32
	v_addc_co_u32_e64 v5, s[0:1], v47, v33, s[0:1]
	v_add_co_u32_e64 v56, s[0:1], s4, v4
	v_addc_co_u32_e64 v57, s[0:1], 0, v5, s[0:1]
	v_lshlrev_b64 v[4:5], 2, v[30:31]
	v_lshlrev_b64 v[34:35], 2, v[14:15]
	v_add_co_u32_e64 v6, s[0:1], s12, v4
	v_addc_co_u32_e64 v7, s[0:1], v47, v5, s[0:1]
	v_add_co_u32_e64 v30, s[0:1], s4, v6
	v_addc_co_u32_e64 v31, s[0:1], 0, v7, s[0:1]
	;; [unrolled: 2-line block ×4, first 2 shown]
	s_waitcnt lgkmcnt(0)
	s_barrier
	global_load_dword v40, v[6:7], off offset:2264
	v_lshlrev_b64 v[6:7], 2, v[24:25]
	v_add_co_u32_e64 v8, s[0:1], s12, v6
	v_addc_co_u32_e64 v9, s[0:1], v47, v7, s[0:1]
	v_add_co_u32_e64 v58, s[0:1], s4, v8
	v_addc_co_u32_e64 v59, s[0:1], 0, v9, s[0:1]
	v_lshlrev_b64 v[8:9], 2, v[20:21]
	v_add_co_u32_e64 v10, s[0:1], s12, v8
	v_addc_co_u32_e64 v11, s[0:1], v47, v9, s[0:1]
	v_add_co_u32_e64 v19, s[0:1], s4, v10
	v_addc_co_u32_e64 v20, s[0:1], 0, v11, s[0:1]
	v_lshlrev_b64 v[10:11], 2, v[26:27]
	global_load_dword v60, v[58:59], off offset:2264
	global_load_dword v61, v[19:20], off offset:2264
	v_add_co_u32_e64 v15, s[0:1], s12, v10
	v_addc_co_u32_e64 v21, s[0:1], v47, v11, s[0:1]
	v_add_co_u32_e64 v19, s[0:1], s4, v15
	v_addc_co_u32_e64 v20, s[0:1], 0, v21, s[0:1]
	global_load_dword v15, v[56:57], off offset:2264
	global_load_dword v58, v[19:20], off offset:2264
	;; [unrolled: 1-line block ×5, first 2 shown]
	v_lshlrev_b64 v[19:20], 2, v[28:29]
	ds_read2_b32 v[29:30], v50 offset0:32 offset1:192
	v_add_co_u32_e64 v21, s[0:1], s12, v19
	v_addc_co_u32_e64 v28, s[0:1], v47, v20, s[0:1]
	v_add_co_u32_e64 v27, s[0:1], s4, v21
	v_addc_co_u32_e64 v28, s[0:1], 0, v28, s[0:1]
	v_lshlrev_b64 v[21:22], 2, v[22:23]
	global_load_dword v31, v[27:28], off offset:2264
	v_add_co_u32_e64 v23, s[0:1], s12, v21
	v_addc_co_u32_e64 v28, s[0:1], v47, v22, s[0:1]
	v_add_co_u32_e64 v27, s[0:1], s4, v23
	v_addc_co_u32_e64 v28, s[0:1], 0, v28, s[0:1]
	global_load_dword v23, v[27:28], off offset:2264
	ds_read2_b32 v[27:28], v49 offset0:32 offset1:192
	v_cmp_ne_u32_e64 s[0:1], 0, v14
	s_waitcnt vmcnt(4) lgkmcnt(0)
	v_pk_mul_f16 v47, v28, v25 op_sel:[0,1]
	v_pk_fma_f16 v49, v28, v25, v47 op_sel:[0,0,1] op_sel_hi:[1,1,0] neg_lo:[0,0,1] neg_hi:[0,0,1]
	v_pk_fma_f16 v47, v28, v25, v47 op_sel:[0,0,1] op_sel_hi:[1,0,0]
	s_waitcnt vmcnt(3)
	v_pk_mul_f16 v25, v27, v59 op_sel:[0,1]
	v_pk_fma_f16 v50, v27, v59, v25 op_sel:[0,0,1] op_sel_hi:[1,1,0] neg_lo:[0,0,1] neg_hi:[0,0,1]
	v_pk_fma_f16 v52, v27, v59, v25 op_sel:[0,0,1] op_sel_hi:[1,0,0]
	s_waitcnt vmcnt(2)
	v_pk_mul_f16 v25, v30, v62 op_sel:[0,1]
	ds_read2_b32 v[27:28], v51 offset0:32 offset1:192
	v_pk_fma_f16 v53, v30, v62, v25 op_sel:[0,0,1] op_sel_hi:[1,1,0] neg_lo:[0,0,1] neg_hi:[0,0,1]
	v_pk_fma_f16 v51, v30, v62, v25 op_sel:[0,0,1] op_sel_hi:[1,0,0]
	s_waitcnt vmcnt(1)
	v_pk_mul_f16 v25, v31, v29 op_sel:[0,1]
	v_pk_fma_f16 v54, v31, v29, v25 op_sel:[0,0,1] op_sel_hi:[1,1,0] neg_lo:[0,0,1] neg_hi:[0,0,1]
	v_pk_fma_f16 v31, v31, v29, v25 op_sel:[0,0,1] op_sel_hi:[1,0,0]
	ds_read2st64_b32 v[29:30], v36 offset1:25
	s_waitcnt lgkmcnt(1)
	v_pk_mul_f16 v25, v15, v27 op_sel:[0,1]
	v_pk_fma_f16 v55, v15, v27, v25 op_sel:[0,0,1] op_sel_hi:[1,1,0] neg_lo:[0,0,1] neg_hi:[0,0,1]
	v_pk_fma_f16 v27, v15, v27, v25 op_sel:[0,0,1] op_sel_hi:[1,0,0]
	s_waitcnt vmcnt(0)
	v_pk_mul_f16 v15, v23, v28 op_sel:[0,1]
	v_pk_fma_f16 v56, v23, v28, v15 op_sel:[0,0,1] op_sel_hi:[1,1,0] neg_lo:[0,0,1] neg_hi:[0,0,1]
	v_pk_fma_f16 v28, v23, v28, v15 op_sel:[0,0,1] op_sel_hi:[1,0,0]
	v_lshl_add_u32 v23, v24, 2, 0
	s_waitcnt lgkmcnt(0)
	v_pk_mul_f16 v24, v40, v30 op_sel:[0,1]
	v_pk_fma_f16 v25, v40, v30, v24 op_sel:[0,0,1] op_sel_hi:[1,1,0] neg_lo:[0,0,1] neg_hi:[0,0,1]
	v_pk_fma_f16 v24, v40, v30, v24 op_sel:[0,0,1] op_sel_hi:[1,0,0]
	v_bfi_b32 v24, s8, v25, v24
	v_lshl_add_u32 v15, v26, 2, 0
	v_pk_add_f16 v26, v29, v24 neg_lo:[0,1] neg_hi:[0,1]
	v_pk_fma_f16 v29, v29, 2.0, v26 op_sel_hi:[1,0,1] neg_lo:[0,0,1] neg_hi:[0,0,1]
	ds_read_b32 v30, v38
	ds_read_b32 v40, v23
	;; [unrolled: 1-line block ×5, first 2 shown]
	ds_read2_b32 v[24:25], v48 offset0:32 offset1:192
	ds_read_b32 v48, v44
	ds_read_b32 v63, v15
	;; [unrolled: 1-line block ×4, first 2 shown]
	ds_read_b32 v66, v36 offset:12160
	s_waitcnt lgkmcnt(0)
	s_barrier
	ds_write2st64_b32 v36, v29, v26 offset1:25
	v_bfi_b32 v26, s8, v55, v27
	v_pk_add_f16 v26, v48, v26 neg_lo:[0,1] neg_hi:[0,1]
	v_pk_fma_f16 v27, v48, 2.0, v26 op_sel_hi:[1,0,1] neg_lo:[0,0,1] neg_hi:[0,0,1]
	ds_write2st64_b32 v44, v27, v26 offset1:25
	v_pk_mul_f16 v26, v24, v60 op_sel:[0,1]
	v_pk_fma_f16 v27, v24, v60, v26 op_sel:[0,0,1] op_sel_hi:[1,1,0] neg_lo:[0,0,1] neg_hi:[0,0,1]
	v_pk_fma_f16 v24, v24, v60, v26 op_sel:[0,0,1] op_sel_hi:[1,0,0]
	v_lshrrev_b32_e32 v26, 16, v25
	v_mul_f16_sdwa v29, v26, v61 dst_sel:DWORD dst_unused:UNUSED_PAD src0_sel:DWORD src1_sel:WORD_1
	v_fma_f16 v29, v25, v61, -v29
	v_mul_f16_sdwa v25, v25, v61 dst_sel:DWORD dst_unused:UNUSED_PAD src0_sel:DWORD src1_sel:WORD_1
	v_bfi_b32 v28, s8, v56, v28
	v_fma_f16 v25, v26, v61, v25
	v_lshrrev_b32_e32 v26, 16, v66
	v_mul_f16_sdwa v48, v66, v58 dst_sel:DWORD dst_unused:UNUSED_PAD src0_sel:DWORD src1_sel:WORD_1
	v_pk_add_f16 v28, v65, v28 neg_lo:[0,1] neg_hi:[0,1]
	v_mul_f16_sdwa v44, v26, v58 dst_sel:DWORD dst_unused:UNUSED_PAD src0_sel:DWORD src1_sel:WORD_1
	v_fma_f16 v26, v26, v58, v48
	v_pk_fma_f16 v48, v65, 2.0, v28 op_sel_hi:[1,0,1] neg_lo:[0,0,1] neg_hi:[0,0,1]
	ds_write2st64_b32 v41, v48, v28 offset1:25
	v_bfi_b32 v28, s8, v54, v31
	v_pk_add_f16 v28, v57, v28 neg_lo:[0,1] neg_hi:[0,1]
	v_pk_fma_f16 v31, v57, 2.0, v28 op_sel_hi:[1,0,1] neg_lo:[0,0,1] neg_hi:[0,0,1]
	ds_write2st64_b32 v46, v31, v28 offset1:25
	v_bfi_b32 v28, s8, v53, v51
	v_pk_add_f16 v28, v64, v28 neg_lo:[0,1] neg_hi:[0,1]
	;; [unrolled: 4-line block ×4, first 2 shown]
	v_bfi_b32 v24, s8, v27, v24
	v_pk_fma_f16 v30, v30, 2.0, v28 op_sel_hi:[1,0,1] neg_lo:[0,0,1] neg_hi:[0,0,1]
	v_pk_add_f16 v24, v40, v24 neg_lo:[0,1] neg_hi:[0,1]
	ds_write2st64_b32 v38, v30, v28 offset1:25
	v_lshrrev_b32_e32 v27, 16, v62
	v_pk_fma_f16 v28, v40, 2.0, v24 op_sel_hi:[1,0,1] neg_lo:[0,0,1] neg_hi:[0,0,1]
	v_fma_f16 v44, v66, v58, -v44
	ds_write2st64_b32 v23, v28, v24 offset1:25
	v_lshrrev_b32_e32 v24, 16, v63
	v_sub_f16_e32 v28, v62, v29
	v_sub_f16_e32 v25, v27, v25
	v_fma_f16 v29, v62, 2.0, -v28
	v_fma_f16 v27, v27, 2.0, -v25
	v_sub_f16_e32 v30, v63, v44
	v_sub_f16_e32 v26, v24, v26
	v_fma_f16 v31, v63, 2.0, -v30
	v_fma_f16 v24, v24, 2.0, -v26
	v_pack_b32_f16 v27, v29, v27
	v_pack_b32_f16 v25, v28, v25
	ds_write2st64_b32 v42, v27, v25 offset1:25
	v_pack_b32_f16 v24, v31, v24
	v_pack_b32_f16 v25, v30, v26
	ds_write2st64_b32 v15, v24, v25 offset1:25
	s_waitcnt lgkmcnt(0)
	s_barrier
	ds_read_b32 v28, v36
	v_sub_u32_e32 v24, 0, v37
                                        ; implicit-def: $vgpr27
                                        ; implicit-def: $vgpr25
                                        ; implicit-def: $vgpr26
	s_and_saveexec_b64 s[4:5], s[0:1]
	s_xor_b64 s[4:5], exec, s[4:5]
	s_cbranch_execz .LBB0_15
; %bb.14:
	v_mov_b32_e32 v26, s7
	v_add_co_u32_e64 v25, s[0:1], s6, v34
	v_addc_co_u32_e64 v26, s[0:1], v26, v35, s[0:1]
	global_load_dword v25, v[25:26], off
	ds_read_b32 v26, v24 offset:12800
	s_waitcnt lgkmcnt(0)
	v_pk_add_f16 v27, v28, v26 neg_lo:[0,1] neg_hi:[0,1]
	v_pk_add_f16 v26, v26, v28
	v_bfi_b32 v28, s8, v27, v26
	v_bfi_b32 v26, s8, v26, v27
	v_pk_mul_f16 v27, v28, 0.5 op_sel_hi:[1,0]
	v_pk_mul_f16 v28, v26, 0.5 op_sel_hi:[1,0]
	s_waitcnt vmcnt(0)
	v_pk_mul_f16 v29, v25, v27 op_sel:[1,0]
	v_pk_mul_f16 v30, v25, v27 op_sel_hi:[0,1]
	v_pk_fma_f16 v25, v26, 0.5, v29 op_sel_hi:[1,0,1]
	v_sub_f16_e32 v26, v28, v29
	v_sub_f16_sdwa v28, v29, v28 dst_sel:DWORD dst_unused:UNUSED_PAD src0_sel:WORD_1 src1_sel:WORD_1
	v_pk_add_f16 v27, v25, v30 op_sel:[0,1] op_sel_hi:[1,0]
	v_pk_add_f16 v29, v25, v30 op_sel:[0,1] op_sel_hi:[1,0] neg_lo:[0,1] neg_hi:[0,1]
	v_sub_f16_sdwa v25, v26, v30 dst_sel:DWORD dst_unused:UNUSED_PAD src0_sel:DWORD src1_sel:WORD_1
	v_bfi_b32 v27, s8, v27, v29
	v_sub_f16_e32 v26, v28, v30
                                        ; implicit-def: $vgpr28
.LBB0_15:
	s_or_saveexec_b64 s[0:1], s[4:5]
	v_mul_i32_i24_e32 v18, 0xffffffdc, v18
	s_xor_b64 exec, exec, s[0:1]
	s_cbranch_execz .LBB0_17
; %bb.16:
	v_mov_b32_e32 v26, 0
	ds_read_u16 v27, v26 offset:6402
	s_waitcnt lgkmcnt(1)
	v_alignbit_b32 v29, s0, v28, 16
	v_sub_f16_sdwa v25, v28, v28 dst_sel:DWORD dst_unused:UNUSED_PAD src0_sel:DWORD src1_sel:WORD_1
	v_pk_add_f16 v28, v29, v28
	s_waitcnt lgkmcnt(0)
	v_xor_b32_e32 v27, 0x8000, v27
	ds_write_b16 v26, v27 offset:6402
	v_pack_b32_f16 v27, v28, 0
.LBB0_17:
	s_or_b64 exec, exec, s[0:1]
	v_mov_b32_e32 v29, s7
	s_waitcnt lgkmcnt(0)
	v_add_co_u32_e64 v28, s[0:1], s6, v32
	v_addc_co_u32_e64 v29, s[0:1], v29, v33, s[0:1]
	global_load_dword v28, v[28:29], off
	v_mov_b32_e32 v29, s7
	v_add_co_u32_e64 v21, s[0:1], s6, v21
	v_addc_co_u32_e64 v22, s[0:1], v29, v22, s[0:1]
	global_load_dword v21, v[21:22], off
	ds_write_b16 v24, v26 offset:12802
	ds_write_b32 v36, v27
	ds_write_b16 v24, v25 offset:12800
	v_add_u32_e32 v22, v43, v18
	v_mov_b32_e32 v25, s7
	v_add_co_u32_e64 v18, s[0:1], s6, v19
	v_addc_co_u32_e64 v19, s[0:1], v25, v20, s[0:1]
	ds_read_b32 v33, v22
	ds_read_b32 v34, v24 offset:12160
	global_load_dword v18, v[18:19], off
	v_mov_b32_e32 v26, s7
	v_add_co_u32_e64 v4, s[0:1], s6, v4
	v_addc_co_u32_e64 v5, s[0:1], v26, v5, s[0:1]
	global_load_dword v4, v[4:5], off
	v_mov_b32_e32 v27, s7
	v_add_co_u32_e64 v0, s[0:1], s6, v0
	v_addc_co_u32_e64 v1, s[0:1], v27, v1, s[0:1]
	s_mov_b32 s4, 0xffff
	v_add_co_u32_e64 v2, s[0:1], s6, v2
	s_waitcnt lgkmcnt(0)
	v_pk_add_f16 v5, v33, v34 neg_lo:[0,1] neg_hi:[0,1]
	v_pk_add_f16 v19, v33, v34
	v_addc_co_u32_e64 v3, s[0:1], v29, v3, s[0:1]
	v_bfi_b32 v20, s4, v5, v19
	v_bfi_b32 v5, s4, v19, v5
	v_mov_b32_e32 v30, s7
	v_add_co_u32_e64 v6, s[0:1], s6, v6
	v_pk_mul_f16 v19, v20, 0.5 op_sel_hi:[1,0]
	v_pk_mul_f16 v5, v5, 0.5 op_sel_hi:[1,0]
	v_addc_co_u32_e64 v7, s[0:1], v30, v7, s[0:1]
	v_mov_b32_e32 v31, s7
	v_add_co_u32_e64 v8, s[0:1], s6, v8
	v_addc_co_u32_e64 v9, s[0:1], v31, v9, s[0:1]
	v_mov_b32_e32 v32, s7
	v_add_co_u32_e64 v10, s[0:1], s6, v10
	v_addc_co_u32_e64 v11, s[0:1], v32, v11, s[0:1]
	s_waitcnt vmcnt(3)
	v_pk_fma_f16 v20, v28, v19, v5 op_sel:[1,0,0]
	v_pk_mul_f16 v25, v28, v19 op_sel_hi:[0,1]
	v_pk_fma_f16 v26, v28, v19, v5 op_sel:[1,0,0] neg_lo:[1,0,0] neg_hi:[1,0,0]
	v_pk_fma_f16 v5, v28, v19, v5 op_sel:[1,0,0] neg_lo:[0,0,1] neg_hi:[0,0,1]
	v_pk_add_f16 v19, v20, v25 op_sel:[0,1] op_sel_hi:[1,0]
	v_pk_add_f16 v20, v20, v25 op_sel:[0,1] op_sel_hi:[1,0] neg_lo:[0,1] neg_hi:[0,1]
	v_pk_add_f16 v26, v26, v25 op_sel:[0,1] op_sel_hi:[1,0] neg_lo:[0,1] neg_hi:[0,1]
	v_pk_add_f16 v5, v5, v25 op_sel:[0,1] op_sel_hi:[1,0] neg_lo:[0,1] neg_hi:[0,1]
	v_bfi_b32 v19, s4, v19, v20
	v_bfi_b32 v5, s4, v26, v5
	ds_write_b32 v22, v19
	ds_write_b32 v24, v5 offset:12160
	ds_read_b32 v5, v41
	ds_read_b32 v19, v24 offset:11520
	global_load_dword v20, v[0:1], off
	global_load_dword v22, v[2:3], off
	;; [unrolled: 1-line block ×5, first 2 shown]
	s_waitcnt lgkmcnt(0)
	v_pk_add_f16 v0, v5, v19 neg_lo:[0,1] neg_hi:[0,1]
	v_pk_add_f16 v1, v5, v19
	v_bfi_b32 v2, s4, v0, v1
	v_bfi_b32 v0, s4, v1, v0
	v_pk_mul_f16 v1, v2, 0.5 op_sel_hi:[1,0]
	v_pk_mul_f16 v0, v0, 0.5 op_sel_hi:[1,0]
	s_waitcnt vmcnt(7)
	v_pk_fma_f16 v2, v21, v1, v0 op_sel:[1,0,0]
	v_pk_mul_f16 v3, v21, v1 op_sel_hi:[0,1]
	v_pk_fma_f16 v5, v21, v1, v0 op_sel:[1,0,0] neg_lo:[1,0,0] neg_hi:[1,0,0]
	v_pk_fma_f16 v0, v21, v1, v0 op_sel:[1,0,0] neg_lo:[0,0,1] neg_hi:[0,0,1]
	v_pk_add_f16 v1, v2, v3 op_sel:[0,1] op_sel_hi:[1,0]
	v_pk_add_f16 v2, v2, v3 op_sel:[0,1] op_sel_hi:[1,0] neg_lo:[0,1] neg_hi:[0,1]
	v_pk_add_f16 v5, v5, v3 op_sel:[0,1] op_sel_hi:[1,0] neg_lo:[0,1] neg_hi:[0,1]
	;; [unrolled: 1-line block ×3, first 2 shown]
	v_bfi_b32 v1, s4, v1, v2
	v_bfi_b32 v0, s4, v5, v0
	ds_write_b32 v41, v1
	ds_write_b32 v24, v0 offset:11520
	ds_read_b32 v0, v46
	ds_read_b32 v1, v24 offset:10880
	s_waitcnt lgkmcnt(0)
	v_pk_add_f16 v2, v0, v1 neg_lo:[0,1] neg_hi:[0,1]
	v_pk_add_f16 v0, v0, v1
	v_bfi_b32 v1, s4, v2, v0
	v_bfi_b32 v0, s4, v0, v2
	v_pk_mul_f16 v1, v1, 0.5 op_sel_hi:[1,0]
	v_pk_mul_f16 v0, v0, 0.5 op_sel_hi:[1,0]
	s_waitcnt vmcnt(6)
	v_pk_fma_f16 v2, v18, v1, v0 op_sel:[1,0,0]
	v_pk_mul_f16 v3, v18, v1 op_sel_hi:[0,1]
	v_pk_add_f16 v5, v2, v3 op_sel:[0,1] op_sel_hi:[1,0]
	v_pk_add_f16 v2, v2, v3 op_sel:[0,1] op_sel_hi:[1,0] neg_lo:[0,1] neg_hi:[0,1]
	v_bfi_b32 v2, s4, v5, v2
	v_pk_fma_f16 v5, v18, v1, v0 op_sel:[1,0,0] neg_lo:[1,0,0] neg_hi:[1,0,0]
	v_pk_fma_f16 v0, v18, v1, v0 op_sel:[1,0,0] neg_lo:[0,0,1] neg_hi:[0,0,1]
	v_pk_add_f16 v5, v5, v3 op_sel:[0,1] op_sel_hi:[1,0] neg_lo:[0,1] neg_hi:[0,1]
	v_pk_add_f16 v0, v0, v3 op_sel:[0,1] op_sel_hi:[1,0] neg_lo:[0,1] neg_hi:[0,1]
	v_bfi_b32 v0, s4, v5, v0
	ds_write_b32 v46, v2
	ds_write_b32 v24, v0 offset:10880
	ds_read_b32 v0, v39
	ds_read_b32 v1, v24 offset:10240
	s_waitcnt lgkmcnt(0)
	v_pk_add_f16 v2, v0, v1 neg_lo:[0,1] neg_hi:[0,1]
	v_pk_add_f16 v0, v0, v1
	v_bfi_b32 v1, s4, v2, v0
	v_bfi_b32 v0, s4, v0, v2
	v_pk_mul_f16 v1, v1, 0.5 op_sel_hi:[1,0]
	v_pk_mul_f16 v0, v0, 0.5 op_sel_hi:[1,0]
	s_waitcnt vmcnt(5)
	v_pk_fma_f16 v2, v4, v1, v0 op_sel:[1,0,0]
	v_pk_mul_f16 v3, v4, v1 op_sel_hi:[0,1]
	v_pk_add_f16 v5, v2, v3 op_sel:[0,1] op_sel_hi:[1,0]
	v_pk_add_f16 v2, v2, v3 op_sel:[0,1] op_sel_hi:[1,0] neg_lo:[0,1] neg_hi:[0,1]
	v_bfi_b32 v2, s4, v5, v2
	v_pk_fma_f16 v5, v4, v1, v0 op_sel:[1,0,0] neg_lo:[1,0,0] neg_hi:[1,0,0]
	v_pk_fma_f16 v0, v4, v1, v0 op_sel:[1,0,0] neg_lo:[0,0,1] neg_hi:[0,0,1]
	v_pk_add_f16 v5, v5, v3 op_sel:[0,1] op_sel_hi:[1,0] neg_lo:[0,1] neg_hi:[0,1]
	v_pk_add_f16 v0, v0, v3 op_sel:[0,1] op_sel_hi:[1,0] neg_lo:[0,1] neg_hi:[0,1]
	;; [unrolled: 22-line block ×7, first 2 shown]
	v_bfi_b32 v0, s4, v4, v0
	ds_write_b32 v15, v2
	ds_write_b32 v24, v0 offset:7040
	s_waitcnt lgkmcnt(0)
	s_barrier
	s_and_saveexec_b64 s[0:1], vcc
	s_cbranch_execz .LBB0_20
; %bb.18:
	v_mul_lo_u32 v2, s3, v16
	v_mul_lo_u32 v3, s2, v17
	v_mad_u64_u32 v[0:1], s[0:1], s2, v16, 0
	v_mov_b32_e32 v4, s11
	v_lshl_add_u32 v6, v14, 2, 0
	v_add3_u32 v1, v1, v3, v2
	v_lshlrev_b64 v[0:1], 2, v[0:1]
	v_mov_b32_e32 v15, 0
	v_add_co_u32_e32 v0, vcc, s10, v0
	v_addc_co_u32_e32 v7, vcc, v4, v1, vcc
	v_lshlrev_b64 v[4:5], 2, v[12:13]
	ds_read2_b32 v[2:3], v6 offset1:160
	v_add_co_u32_e32 v1, vcc, v0, v4
	v_addc_co_u32_e32 v0, vcc, v7, v5, vcc
	v_lshlrev_b64 v[4:5], 2, v[14:15]
	s_movk_i32 s0, 0x9f
	v_add_co_u32_e32 v4, vcc, v1, v4
	v_addc_co_u32_e32 v5, vcc, v0, v5, vcc
	s_waitcnt lgkmcnt(0)
	global_store_dword v[4:5], v2, off
	v_add_u32_e32 v4, 0xa0, v14
	v_mov_b32_e32 v5, v15
	v_lshlrev_b64 v[4:5], 2, v[4:5]
	v_add_u32_e32 v2, 0x140, v14
	v_add_co_u32_e32 v4, vcc, v1, v4
	v_addc_co_u32_e32 v5, vcc, v0, v5, vcc
	global_store_dword v[4:5], v3, off
	v_add_u32_e32 v4, 0x400, v6
	v_mov_b32_e32 v3, v15
	ds_read2_b32 v[4:5], v4 offset0:64 offset1:224
	v_lshlrev_b64 v[2:3], 2, v[2:3]
	v_add_co_u32_e32 v2, vcc, v1, v2
	v_addc_co_u32_e32 v3, vcc, v0, v3, vcc
	s_waitcnt lgkmcnt(0)
	global_store_dword v[2:3], v4, off
	v_add_u32_e32 v2, 0x1e0, v14
	v_mov_b32_e32 v3, v15
	v_lshlrev_b64 v[2:3], 2, v[2:3]
	v_add_u32_e32 v4, 0xa00, v6
	v_add_co_u32_e32 v2, vcc, v1, v2
	v_addc_co_u32_e32 v3, vcc, v0, v3, vcc
	global_store_dword v[2:3], v5, off
	v_add_u32_e32 v2, 0x280, v14
	v_mov_b32_e32 v3, v15
	ds_read2_b32 v[4:5], v4 offset1:160
	v_lshlrev_b64 v[2:3], 2, v[2:3]
	v_add_co_u32_e32 v2, vcc, v1, v2
	v_addc_co_u32_e32 v3, vcc, v0, v3, vcc
	s_waitcnt lgkmcnt(0)
	global_store_dword v[2:3], v4, off
	v_add_u32_e32 v2, 0x320, v14
	v_mov_b32_e32 v3, v15
	v_lshlrev_b64 v[2:3], 2, v[2:3]
	v_add_u32_e32 v4, 0xe00, v6
	v_add_co_u32_e32 v2, vcc, v1, v2
	v_addc_co_u32_e32 v3, vcc, v0, v3, vcc
	global_store_dword v[2:3], v5, off
	v_add_u32_e32 v2, 0x3c0, v14
	v_mov_b32_e32 v3, v15
	ds_read2_b32 v[4:5], v4 offset0:64 offset1:224
	v_lshlrev_b64 v[2:3], 2, v[2:3]
	v_add_co_u32_e32 v2, vcc, v1, v2
	v_addc_co_u32_e32 v3, vcc, v0, v3, vcc
	s_waitcnt lgkmcnt(0)
	global_store_dword v[2:3], v4, off
	v_add_u32_e32 v2, 0x460, v14
	v_mov_b32_e32 v3, v15
	v_lshlrev_b64 v[2:3], 2, v[2:3]
	v_add_u32_e32 v4, 0x1400, v6
	v_add_co_u32_e32 v2, vcc, v1, v2
	v_addc_co_u32_e32 v3, vcc, v0, v3, vcc
	global_store_dword v[2:3], v5, off
	v_add_u32_e32 v2, 0x500, v14
	v_mov_b32_e32 v3, v15
	ds_read2_b32 v[4:5], v4 offset1:160
	v_lshlrev_b64 v[2:3], 2, v[2:3]
	;; [unrolled: 30-line block ×4, first 2 shown]
	v_add_co_u32_e32 v2, vcc, v1, v2
	v_addc_co_u32_e32 v3, vcc, v0, v3, vcc
	s_waitcnt lgkmcnt(0)
	global_store_dword v[2:3], v4, off
	v_add_u32_e32 v2, 0xaa0, v14
	v_mov_b32_e32 v3, v15
	v_lshlrev_b64 v[2:3], 2, v[2:3]
	v_add_u32_e32 v4, 0x2c00, v6
	v_add_co_u32_e32 v2, vcc, v1, v2
	v_addc_co_u32_e32 v3, vcc, v0, v3, vcc
	global_store_dword v[2:3], v5, off
	v_add_u32_e32 v2, 0xb40, v14
	v_mov_b32_e32 v3, v15
	ds_read2_b32 v[4:5], v4 offset0:64 offset1:224
	v_lshlrev_b64 v[2:3], 2, v[2:3]
	v_add_co_u32_e32 v2, vcc, v1, v2
	v_addc_co_u32_e32 v3, vcc, v0, v3, vcc
	s_waitcnt lgkmcnt(0)
	global_store_dword v[2:3], v4, off
	v_add_u32_e32 v2, 0xbe0, v14
	v_mov_b32_e32 v3, v15
	v_lshlrev_b64 v[2:3], 2, v[2:3]
	v_add_co_u32_e32 v2, vcc, v1, v2
	v_addc_co_u32_e32 v3, vcc, v0, v3, vcc
	v_cmp_eq_u32_e32 vcc, s0, v14
	global_store_dword v[2:3], v5, off
	s_and_b64 exec, exec, vcc
	s_cbranch_execz .LBB0_20
; %bb.19:
	ds_read_b32 v3, v15 offset:12800
	v_add_co_u32_e32 v1, vcc, 0x3000, v1
	v_addc_co_u32_e32 v2, vcc, 0, v0, vcc
	s_waitcnt lgkmcnt(0)
	global_store_dword v[1:2], v3, off offset:512
.LBB0_20:
	s_endpgm
	.section	.rodata,"a",@progbits
	.p2align	6, 0x0
	.amdhsa_kernel fft_rtc_fwd_len3200_factors_10_10_4_4_2_wgs_160_tpt_160_halfLds_half_op_CI_CI_unitstride_sbrr_R2C_dirReg
		.amdhsa_group_segment_fixed_size 0
		.amdhsa_private_segment_fixed_size 0
		.amdhsa_kernarg_size 104
		.amdhsa_user_sgpr_count 6
		.amdhsa_user_sgpr_private_segment_buffer 1
		.amdhsa_user_sgpr_dispatch_ptr 0
		.amdhsa_user_sgpr_queue_ptr 0
		.amdhsa_user_sgpr_kernarg_segment_ptr 1
		.amdhsa_user_sgpr_dispatch_id 0
		.amdhsa_user_sgpr_flat_scratch_init 0
		.amdhsa_user_sgpr_private_segment_size 0
		.amdhsa_uses_dynamic_stack 0
		.amdhsa_system_sgpr_private_segment_wavefront_offset 0
		.amdhsa_system_sgpr_workgroup_id_x 1
		.amdhsa_system_sgpr_workgroup_id_y 0
		.amdhsa_system_sgpr_workgroup_id_z 0
		.amdhsa_system_sgpr_workgroup_info 0
		.amdhsa_system_vgpr_workitem_id 0
		.amdhsa_next_free_vgpr 102
		.amdhsa_next_free_sgpr 28
		.amdhsa_reserve_vcc 1
		.amdhsa_reserve_flat_scratch 0
		.amdhsa_float_round_mode_32 0
		.amdhsa_float_round_mode_16_64 0
		.amdhsa_float_denorm_mode_32 3
		.amdhsa_float_denorm_mode_16_64 3
		.amdhsa_dx10_clamp 1
		.amdhsa_ieee_mode 1
		.amdhsa_fp16_overflow 0
		.amdhsa_exception_fp_ieee_invalid_op 0
		.amdhsa_exception_fp_denorm_src 0
		.amdhsa_exception_fp_ieee_div_zero 0
		.amdhsa_exception_fp_ieee_overflow 0
		.amdhsa_exception_fp_ieee_underflow 0
		.amdhsa_exception_fp_ieee_inexact 0
		.amdhsa_exception_int_div_zero 0
	.end_amdhsa_kernel
	.text
.Lfunc_end0:
	.size	fft_rtc_fwd_len3200_factors_10_10_4_4_2_wgs_160_tpt_160_halfLds_half_op_CI_CI_unitstride_sbrr_R2C_dirReg, .Lfunc_end0-fft_rtc_fwd_len3200_factors_10_10_4_4_2_wgs_160_tpt_160_halfLds_half_op_CI_CI_unitstride_sbrr_R2C_dirReg
                                        ; -- End function
	.section	.AMDGPU.csdata,"",@progbits
; Kernel info:
; codeLenInByte = 15496
; NumSgprs: 32
; NumVgprs: 102
; ScratchSize: 0
; MemoryBound: 0
; FloatMode: 240
; IeeeMode: 1
; LDSByteSize: 0 bytes/workgroup (compile time only)
; SGPRBlocks: 3
; VGPRBlocks: 25
; NumSGPRsForWavesPerEU: 32
; NumVGPRsForWavesPerEU: 102
; Occupancy: 2
; WaveLimiterHint : 1
; COMPUTE_PGM_RSRC2:SCRATCH_EN: 0
; COMPUTE_PGM_RSRC2:USER_SGPR: 6
; COMPUTE_PGM_RSRC2:TRAP_HANDLER: 0
; COMPUTE_PGM_RSRC2:TGID_X_EN: 1
; COMPUTE_PGM_RSRC2:TGID_Y_EN: 0
; COMPUTE_PGM_RSRC2:TGID_Z_EN: 0
; COMPUTE_PGM_RSRC2:TIDIG_COMP_CNT: 0
	.type	__hip_cuid_37da3fb9033f691a,@object ; @__hip_cuid_37da3fb9033f691a
	.section	.bss,"aw",@nobits
	.globl	__hip_cuid_37da3fb9033f691a
__hip_cuid_37da3fb9033f691a:
	.byte	0                               ; 0x0
	.size	__hip_cuid_37da3fb9033f691a, 1

	.ident	"AMD clang version 19.0.0git (https://github.com/RadeonOpenCompute/llvm-project roc-6.4.0 25133 c7fe45cf4b819c5991fe208aaa96edf142730f1d)"
	.section	".note.GNU-stack","",@progbits
	.addrsig
	.addrsig_sym __hip_cuid_37da3fb9033f691a
	.amdgpu_metadata
---
amdhsa.kernels:
  - .args:
      - .actual_access:  read_only
        .address_space:  global
        .offset:         0
        .size:           8
        .value_kind:     global_buffer
      - .offset:         8
        .size:           8
        .value_kind:     by_value
      - .actual_access:  read_only
        .address_space:  global
        .offset:         16
        .size:           8
        .value_kind:     global_buffer
      - .actual_access:  read_only
        .address_space:  global
        .offset:         24
        .size:           8
        .value_kind:     global_buffer
      - .actual_access:  read_only
        .address_space:  global
        .offset:         32
        .size:           8
        .value_kind:     global_buffer
      - .offset:         40
        .size:           8
        .value_kind:     by_value
      - .actual_access:  read_only
        .address_space:  global
        .offset:         48
        .size:           8
        .value_kind:     global_buffer
      - .actual_access:  read_only
        .address_space:  global
        .offset:         56
        .size:           8
        .value_kind:     global_buffer
      - .offset:         64
        .size:           4
        .value_kind:     by_value
      - .actual_access:  read_only
        .address_space:  global
        .offset:         72
        .size:           8
        .value_kind:     global_buffer
      - .actual_access:  read_only
        .address_space:  global
        .offset:         80
        .size:           8
        .value_kind:     global_buffer
      - .actual_access:  read_only
        .address_space:  global
        .offset:         88
        .size:           8
        .value_kind:     global_buffer
      - .actual_access:  write_only
        .address_space:  global
        .offset:         96
        .size:           8
        .value_kind:     global_buffer
    .group_segment_fixed_size: 0
    .kernarg_segment_align: 8
    .kernarg_segment_size: 104
    .language:       OpenCL C
    .language_version:
      - 2
      - 0
    .max_flat_workgroup_size: 160
    .name:           fft_rtc_fwd_len3200_factors_10_10_4_4_2_wgs_160_tpt_160_halfLds_half_op_CI_CI_unitstride_sbrr_R2C_dirReg
    .private_segment_fixed_size: 0
    .sgpr_count:     32
    .sgpr_spill_count: 0
    .symbol:         fft_rtc_fwd_len3200_factors_10_10_4_4_2_wgs_160_tpt_160_halfLds_half_op_CI_CI_unitstride_sbrr_R2C_dirReg.kd
    .uniform_work_group_size: 1
    .uses_dynamic_stack: false
    .vgpr_count:     102
    .vgpr_spill_count: 0
    .wavefront_size: 64
amdhsa.target:   amdgcn-amd-amdhsa--gfx906
amdhsa.version:
  - 1
  - 2
...

	.end_amdgpu_metadata
